;; amdgpu-corpus repo=ROCm/rocFFT kind=compiled arch=gfx1100 opt=O3
	.text
	.amdgcn_target "amdgcn-amd-amdhsa--gfx1100"
	.amdhsa_code_object_version 6
	.protected	bluestein_single_back_len1331_dim1_dp_op_CI_CI ; -- Begin function bluestein_single_back_len1331_dim1_dp_op_CI_CI
	.globl	bluestein_single_back_len1331_dim1_dp_op_CI_CI
	.p2align	8
	.type	bluestein_single_back_len1331_dim1_dp_op_CI_CI,@function
bluestein_single_back_len1331_dim1_dp_op_CI_CI: ; @bluestein_single_back_len1331_dim1_dp_op_CI_CI
; %bb.0:
	s_load_b128 s[16:19], s[0:1], 0x28
	v_mul_u32_u24_e32 v1, 0x21e, v0
	v_mov_b32_e32 v3, 0
	s_mov_b32 s2, exec_lo
	s_delay_alu instid0(VALU_DEP_2) | instskip(NEXT) | instid1(VALU_DEP_1)
	v_lshrrev_b32_e32 v44, 16, v1
	v_lshl_add_u32 v2, s15, 1, v44
	s_waitcnt lgkmcnt(0)
	s_delay_alu instid0(VALU_DEP_1)
	v_cmpx_gt_u64_e64 s[16:17], v[2:3]
	s_cbranch_execz .LBB0_2
; %bb.1:
	s_clause 0x1
	s_load_b128 s[4:7], s[0:1], 0x18
	s_load_b128 s[8:11], s[0:1], 0x0
	v_mul_lo_u16 v1, 0x79, v44
	s_mov_b32 s20, 0xf8bb580b
	s_mov_b32 s26, 0x8eee2c13
	;; [unrolled: 1-line block ×4, first 2 shown]
	v_sub_nc_u16 v58, v0, v1
	s_mov_b32 s21, 0xbfe14ced
	s_mov_b32 s27, 0xbfed1bb4
	;; [unrolled: 1-line block ×3, first 2 shown]
	s_delay_alu instid0(VALU_DEP_1)
	v_dual_mov_b32 v6, v2 :: v_dual_and_b32 v185, 0xffff, v58
	s_mov_b32 s23, 0xbfd207e7
	s_mov_b32 s16, 0x8764f0ba
	;; [unrolled: 1-line block ×3, first 2 shown]
	scratch_store_b64 off, v[6:7], off      ; 8-byte Folded Spill
	s_mov_b32 s29, 0x3fd207e7
	s_mov_b32 s28, s22
	;; [unrolled: 1-line block ×3, first 2 shown]
	s_waitcnt lgkmcnt(0)
	s_load_b128 s[12:15], s[4:5], 0x0
	s_mov_b32 s30, s24
	s_mov_b32 s35, 0x3fe14ced
	;; [unrolled: 1-line block ×5, first 2 shown]
	s_load_b64 s[0:1], s[0:1], 0x38
	s_waitcnt lgkmcnt(0)
	v_mad_u64_u32 v[0:1], null, s14, v2, 0
	v_mad_u64_u32 v[2:3], null, s12, v185, 0
	s_mul_i32 s2, s13, 0x790
	s_mul_hi_u32 s3, s12, 0x790
	s_mul_i32 s4, s12, 0x790
	s_add_i32 s3, s3, s2
	s_delay_alu instid0(VALU_DEP_1) | instskip(SKIP_2) | instid1(VALU_DEP_1)
	v_mad_u64_u32 v[4:5], null, s15, v6, v[1:2]
	s_mov_b32 s14, 0xd9c712b6
	s_mov_b32 s15, 0x3fda9628
	v_mad_u64_u32 v[5:6], null, s13, v185, v[3:4]
	v_dual_mov_b32 v1, v4 :: v_dual_lshlrev_b32 v6, 4, v185
	s_mov_b32 s12, 0x640f44db
	s_mov_b32 s13, 0xbfc2375f
	s_delay_alu instid0(VALU_DEP_1) | instskip(NEXT) | instid1(VALU_DEP_3)
	v_lshlrev_b64 v[0:1], 4, v[0:1]
	v_mov_b32_e32 v3, v5
	v_add_co_u32 v187, s2, s8, v6
	s_delay_alu instid0(VALU_DEP_1) | instskip(NEXT) | instid1(VALU_DEP_3)
	v_add_co_ci_u32_e64 v188, null, s9, 0, s2
	v_lshlrev_b64 v[2:3], 4, v[2:3]
	v_add_co_u32 v0, vcc_lo, s18, v0
	v_add_co_ci_u32_e32 v1, vcc_lo, s19, v1, vcc_lo
	s_mov_b32 s18, 0xbb3a28a1
	s_delay_alu instid0(VALU_DEP_2) | instskip(NEXT) | instid1(VALU_DEP_2)
	v_add_co_u32 v4, vcc_lo, v0, v2
	v_add_co_ci_u32_e32 v5, vcc_lo, v1, v3, vcc_lo
	global_load_b128 v[0:3], v6, s[8:9]
	global_load_b128 v[12:15], v[4:5], off
	v_add_co_u32 v8, vcc_lo, v4, s4
	v_add_co_ci_u32_e32 v9, vcc_lo, s3, v5, vcc_lo
	global_load_b128 v[30:33], v6, s[8:9] offset:1936
	v_add_co_u32 v24, vcc_lo, v8, s4
	v_add_co_ci_u32_e32 v25, vcc_lo, s3, v9, vcc_lo
	global_load_b128 v[16:19], v[8:9], off
	global_load_b128 v[36:39], v6, s[8:9] offset:3872
	global_load_b128 v[20:23], v[24:25], off
	v_add_co_u32 v24, vcc_lo, v24, s4
	v_add_co_ci_u32_e32 v25, vcc_lo, s3, v25, vcc_lo
	s_mov_b32 s19, 0xbfe82f19
	s_mov_b32 s8, 0x7f775887
	;; [unrolled: 1-line block ×3, first 2 shown]
	s_waitcnt vmcnt(5)
	scratch_store_b128 off, v[0:3], off offset:24 ; 16-byte Folded Spill
	s_waitcnt vmcnt(4)
	v_mul_f64 v[26:27], v[14:15], v[2:3]
	v_mul_f64 v[28:29], v[12:13], v[2:3]
	s_waitcnt vmcnt(3)
	v_dual_mov_b32 v2, v30 :: v_dual_mov_b32 v3, v31
	v_dual_mov_b32 v4, v32 :: v_dual_mov_b32 v5, v33
	s_waitcnt vmcnt(1)
	scratch_store_b128 off, v[36:39], off offset:8 ; 16-byte Folded Spill
	s_waitcnt vmcnt(0)
	v_mul_f64 v[34:35], v[22:23], v[38:39]
	v_mul_f64 v[30:31], v[18:19], v[4:5]
	;; [unrolled: 1-line block ×3, first 2 shown]
	scratch_store_b128 off, v[2:5], off offset:40 ; 16-byte Folded Spill
	v_fma_f64 v[45:46], v[12:13], v[0:1], v[26:27]
	v_mul_f64 v[12:13], v[20:21], v[38:39]
	v_fma_f64 v[47:48], v[14:15], v[0:1], -v[28:29]
	v_add_co_u32 v14, vcc_lo, 0x1000, v187
	v_add_co_ci_u32_e32 v15, vcc_lo, 0, v188, vcc_lo
	v_fma_f64 v[53:54], v[20:21], v[36:37], v[34:35]
	v_fma_f64 v[49:50], v[16:17], v[2:3], v[30:31]
	v_fma_f64 v[51:52], v[18:19], v[2:3], -v[32:33]
	v_fma_f64 v[55:56], v[22:23], v[36:37], -v[12:13]
	global_load_b128 v[20:23], v[24:25], off
	s_clause 0x1
	global_load_b128 v[0:3], v[14:15], off offset:1712
	global_load_b128 v[7:10], v[14:15], off offset:3648
	v_add_co_u32 v24, vcc_lo, v24, s4
	v_add_co_ci_u32_e32 v25, vcc_lo, s3, v25, vcc_lo
	s_delay_alu instid0(VALU_DEP_2) | instskip(NEXT) | instid1(VALU_DEP_2)
	v_add_co_u32 v32, vcc_lo, v24, s4
	v_add_co_ci_u32_e32 v33, vcc_lo, s3, v25, vcc_lo
	s_waitcnt vmcnt(1)
	v_mul_f64 v[26:27], v[22:23], v[2:3]
	v_mul_f64 v[28:29], v[20:21], v[2:3]
	scratch_store_b128 off, v[0:3], off offset:72 ; 16-byte Folded Spill
	s_waitcnt vmcnt(0)
	scratch_store_b128 off, v[7:10], off offset:56 ; 16-byte Folded Spill
	v_fma_f64 v[59:60], v[20:21], v[0:1], v[26:27]
	v_fma_f64 v[61:62], v[22:23], v[0:1], -v[28:29]
	global_load_b128 v[20:23], v[24:25], off
	s_waitcnt vmcnt(0)
	v_mul_f64 v[26:27], v[22:23], v[9:10]
	v_mul_f64 v[28:29], v[20:21], v[9:10]
	s_delay_alu instid0(VALU_DEP_2) | instskip(SKIP_2) | instid1(VALU_DEP_4)
	v_fma_f64 v[63:64], v[20:21], v[7:8], v[26:27]
	v_add_co_u32 v20, vcc_lo, 0x2000, v187
	v_add_co_ci_u32_e32 v21, vcc_lo, 0, v188, vcc_lo
	v_fma_f64 v[65:66], v[22:23], v[7:8], -v[28:29]
	s_clause 0x1
	global_load_b128 v[0:3], v[20:21], off offset:1488
	global_load_b128 v[7:10], v[20:21], off offset:3424
	global_load_b128 v[28:31], v[32:33], off
	v_add_co_u32 v32, vcc_lo, v32, s4
	v_add_co_ci_u32_e32 v33, vcc_lo, s3, v33, vcc_lo
	s_delay_alu instid0(VALU_DEP_2) | instskip(NEXT) | instid1(VALU_DEP_2)
	v_add_co_u32 v40, vcc_lo, v32, s4
	v_add_co_ci_u32_e32 v41, vcc_lo, s3, v33, vcc_lo
	s_waitcnt vmcnt(2)
	scratch_store_b128 off, v[0:3], off offset:104 ; 16-byte Folded Spill
	s_waitcnt vmcnt(1)
	scratch_store_b128 off, v[7:10], off offset:88 ; 16-byte Folded Spill
	s_waitcnt vmcnt(0)
	v_mul_f64 v[34:35], v[30:31], v[2:3]
	v_mul_f64 v[36:37], v[28:29], v[2:3]
	s_delay_alu instid0(VALU_DEP_2) | instskip(NEXT) | instid1(VALU_DEP_2)
	v_fma_f64 v[67:68], v[28:29], v[0:1], v[34:35]
	v_fma_f64 v[69:70], v[30:31], v[0:1], -v[36:37]
	global_load_b128 v[28:31], v[32:33], off
	s_waitcnt vmcnt(0)
	v_mul_f64 v[34:35], v[30:31], v[9:10]
	v_mul_f64 v[36:37], v[28:29], v[9:10]
	s_delay_alu instid0(VALU_DEP_2) | instskip(SKIP_2) | instid1(VALU_DEP_4)
	v_fma_f64 v[71:72], v[28:29], v[7:8], v[34:35]
	v_add_co_u32 v28, vcc_lo, 0x3000, v187
	v_add_co_ci_u32_e32 v29, vcc_lo, 0, v188, vcc_lo
	v_fma_f64 v[73:74], v[30:31], v[7:8], -v[36:37]
	s_clause 0x1
	global_load_b128 v[0:3], v[28:29], off offset:1264
	global_load_b128 v[7:10], v[28:29], off offset:3200
	global_load_b128 v[36:39], v[40:41], off
	v_add_co_u32 v40, vcc_lo, v40, s4
	v_add_co_ci_u32_e32 v41, vcc_lo, s3, v41, vcc_lo
	s_delay_alu instid0(VALU_DEP_2) | instskip(NEXT) | instid1(VALU_DEP_2)
	v_add_co_u32 v87, vcc_lo, v40, s4
	v_add_co_ci_u32_e32 v88, vcc_lo, s3, v41, vcc_lo
	s_waitcnt vmcnt(2)
	scratch_store_b128 off, v[0:3], off offset:136 ; 16-byte Folded Spill
	s_waitcnt vmcnt(1)
	scratch_store_b128 off, v[7:10], off offset:120 ; 16-byte Folded Spill
	s_waitcnt vmcnt(0)
	v_mul_f64 v[42:43], v[38:39], v[2:3]
	v_mul_f64 v[77:78], v[36:37], v[2:3]
	s_delay_alu instid0(VALU_DEP_2) | instskip(NEXT) | instid1(VALU_DEP_2)
	v_fma_f64 v[75:76], v[36:37], v[0:1], v[42:43]
	v_fma_f64 v[77:78], v[38:39], v[0:1], -v[77:78]
	global_load_b128 v[36:39], v[40:41], off
	v_add_co_u32 v40, vcc_lo, 0x4000, v187
	v_add_co_ci_u32_e32 v41, vcc_lo, 0, v188, vcc_lo
	s_waitcnt vmcnt(0)
	v_mul_f64 v[42:43], v[38:39], v[9:10]
	v_mul_f64 v[81:82], v[36:37], v[9:10]
	s_delay_alu instid0(VALU_DEP_2) | instskip(NEXT) | instid1(VALU_DEP_2)
	v_fma_f64 v[79:80], v[36:37], v[7:8], v[42:43]
	v_fma_f64 v[81:82], v[38:39], v[7:8], -v[81:82]
	s_clause 0x1
	global_load_b128 v[0:3], v[40:41], off offset:1040
	global_load_b128 v[7:10], v[40:41], off offset:2976
	global_load_b128 v[83:86], v[87:88], off
	v_add_co_u32 v87, vcc_lo, v87, s4
	v_add_co_ci_u32_e32 v88, vcc_lo, s3, v88, vcc_lo
	s_mov_b32 s2, 0x9bcd5057
	s_mov_b32 s3, 0xbfeeb42a
	s_waitcnt vmcnt(2)
	scratch_store_b128 off, v[0:3], off offset:152 ; 16-byte Folded Spill
	s_waitcnt vmcnt(1)
	scratch_store_b128 off, v[7:10], off offset:168 ; 16-byte Folded Spill
	s_waitcnt vmcnt(0)
	v_mul_f64 v[89:90], v[85:86], v[2:3]
	v_mul_f64 v[91:92], v[83:84], v[2:3]
	s_delay_alu instid0(VALU_DEP_2) | instskip(SKIP_3) | instid1(VALU_DEP_1)
	v_fma_f64 v[83:84], v[83:84], v[0:1], v[89:90]
	global_load_b128 v[87:90], v[87:88], off
	v_fma_f64 v[85:86], v[85:86], v[0:1], -v[91:92]
	v_and_b32_e32 v0, 1, v44
	v_cmp_eq_u32_e32 vcc_lo, 1, v0
	v_mul_lo_u16 v0, v58, 11
	v_cndmask_b32_e64 v255, 0, 0x5330, vcc_lo
	s_delay_alu instid0(VALU_DEP_2) | instskip(NEXT) | instid1(VALU_DEP_2)
	v_and_b32_e32 v0, 0xffff, v0
	v_add_nc_u32_e32 v186, v255, v6
	s_waitcnt vmcnt(0)
	v_mul_f64 v[91:92], v[89:90], v[9:10]
	v_mul_f64 v[93:94], v[87:88], v[9:10]
	s_delay_alu instid0(VALU_DEP_2) | instskip(NEXT) | instid1(VALU_DEP_2)
	v_fma_f64 v[87:88], v[87:88], v[7:8], v[91:92]
	v_fma_f64 v[89:90], v[89:90], v[7:8], -v[93:94]
	ds_store_b128 v186, v[45:48]
	ds_store_b128 v186, v[49:52] offset:1936
	ds_store_b128 v186, v[53:56] offset:3872
	;; [unrolled: 1-line block ×10, first 2 shown]
	s_load_b128 s[4:7], s[6:7], 0x0
	s_waitcnt lgkmcnt(0)
	s_waitcnt_vscnt null, 0x0
	s_barrier
	buffer_gl0_inv
	ds_load_b128 v[44:47], v186
	ds_load_b128 v[48:51], v186 offset:1936
	ds_load_b128 v[52:55], v186 offset:3872
	;; [unrolled: 1-line block ×3, first 2 shown]
	s_waitcnt lgkmcnt(2)
	v_add_f64 v[56:57], v[44:45], v[48:49]
	v_add_f64 v[63:64], v[46:47], v[50:51]
	s_waitcnt lgkmcnt(1)
	s_delay_alu instid0(VALU_DEP_2) | instskip(NEXT) | instid1(VALU_DEP_2)
	v_add_f64 v[56:57], v[56:57], v[52:53]
	v_add_f64 v[63:64], v[63:64], v[54:55]
	s_waitcnt lgkmcnt(0)
	s_delay_alu instid0(VALU_DEP_2) | instskip(NEXT) | instid1(VALU_DEP_2)
	v_add_f64 v[56:57], v[56:57], v[59:60]
	v_add_f64 v[71:72], v[63:64], v[61:62]
	ds_load_b128 v[63:66], v186 offset:7744
	ds_load_b128 v[67:70], v186 offset:9680
	s_waitcnt lgkmcnt(1)
	v_add_f64 v[56:57], v[56:57], v[63:64]
	v_add_f64 v[71:72], v[71:72], v[65:66]
	s_waitcnt lgkmcnt(0)
	s_delay_alu instid0(VALU_DEP_2) | instskip(NEXT) | instid1(VALU_DEP_2)
	v_add_f64 v[56:57], v[56:57], v[67:68]
	v_add_f64 v[79:80], v[71:72], v[69:70]
	ds_load_b128 v[71:74], v186 offset:11616
	ds_load_b128 v[75:78], v186 offset:13552
	s_waitcnt lgkmcnt(1)
	v_add_f64 v[87:88], v[67:68], v[71:72]
	v_add_f64 v[81:82], v[67:68], -v[71:72]
	v_add_f64 v[89:90], v[69:70], v[73:74]
	v_add_f64 v[83:84], v[69:70], -v[73:74]
	s_waitcnt lgkmcnt(0)
	v_add_f64 v[91:92], v[63:64], v[75:76]
	v_add_f64 v[93:94], v[65:66], v[77:78]
	;; [unrolled: 1-line block ×4, first 2 shown]
	v_add_f64 v[73:74], v[63:64], -v[75:76]
	v_add_f64 v[71:72], v[65:66], -v[77:78]
	v_mul_f64 v[151:152], v[81:82], s[22:23]
	v_mul_f64 v[167:168], v[81:82], s[34:35]
	;; [unrolled: 1-line block ×10, first 2 shown]
	v_add_f64 v[56:57], v[56:57], v[75:76]
	v_add_f64 v[75:76], v[67:68], v[77:78]
	ds_load_b128 v[63:66], v186 offset:15488
	ds_load_b128 v[67:70], v186 offset:17424
	v_mul_f64 v[145:146], v[71:72], s[18:19]
	v_mul_f64 v[147:148], v[73:74], s[18:19]
	;; [unrolled: 1-line block ×10, first 2 shown]
	s_waitcnt lgkmcnt(1)
	v_add_f64 v[79:80], v[59:60], -v[63:64]
	v_add_f64 v[95:96], v[59:60], v[63:64]
	s_waitcnt lgkmcnt(0)
	v_add_f64 v[85:86], v[52:53], -v[67:68]
	v_add_f64 v[99:100], v[52:53], v[67:68]
	v_add_f64 v[101:102], v[54:55], v[69:70]
	v_add_f64 v[77:78], v[61:62], -v[65:66]
	v_add_f64 v[97:98], v[61:62], v[65:66]
	v_add_f64 v[56:57], v[56:57], v[63:64]
	;; [unrolled: 1-line block ×3, first 2 shown]
	v_add_f64 v[75:76], v[54:55], -v[69:70]
	ds_load_b128 v[52:55], v186 offset:19360
	s_waitcnt lgkmcnt(0)
	s_barrier
	buffer_gl0_inv
	v_mul_f64 v[143:144], v[79:80], s[24:25]
	v_mul_f64 v[159:160], v[79:80], s[28:29]
	v_add_f64 v[61:62], v[50:51], -v[54:55]
	v_add_f64 v[63:64], v[48:49], -v[52:53]
	v_add_f64 v[65:66], v[48:49], v[52:53]
	v_mul_f64 v[139:140], v[85:86], s[26:27]
	v_mul_f64 v[141:142], v[77:78], s[24:25]
	;; [unrolled: 1-line block ×7, first 2 shown]
	v_add_f64 v[56:57], v[56:57], v[67:68]
	v_add_f64 v[59:60], v[59:60], v[69:70]
	v_add_f64 v[67:68], v[50:51], v[54:55]
	v_mul_f64 v[137:138], v[75:76], s[26:27]
	v_mul_f64 v[153:154], v[75:76], s[18:19]
	;; [unrolled: 1-line block ×8, first 2 shown]
	v_add_f64 v[48:49], v[56:57], v[52:53]
	v_add_f64 v[50:51], v[59:60], v[54:55]
	v_mul_f64 v[52:53], v[61:62], s[20:21]
	v_mul_f64 v[54:55], v[61:62], s[26:27]
	;; [unrolled: 1-line block ×5, first 2 shown]
	v_fma_f64 v[119:120], v[67:68], s[14:15], v[111:112]
	v_fma_f64 v[121:122], v[67:68], s[12:13], v[113:114]
	;; [unrolled: 1-line block ×3, first 2 shown]
	v_fma_f64 v[111:112], v[67:68], s[14:15], -v[111:112]
	v_fma_f64 v[113:114], v[67:68], s[12:13], -v[113:114]
	;; [unrolled: 1-line block ×4, first 2 shown]
	v_fma_f64 v[52:53], v[65:66], s[16:17], v[52:53]
	v_fma_f64 v[103:104], v[65:66], s[14:15], -v[54:55]
	v_fma_f64 v[54:55], v[65:66], s[14:15], v[54:55]
	v_fma_f64 v[105:106], v[65:66], s[12:13], -v[56:57]
	;; [unrolled: 2-line block ×4, first 2 shown]
	v_fma_f64 v[61:62], v[65:66], s[2:3], v[61:62]
	v_mul_f64 v[65:66], v[63:64], s[20:21]
	v_mul_f64 v[63:64], v[63:64], s[22:23]
	v_add_f64 v[111:112], v[46:47], v[111:112]
	v_add_f64 v[113:114], v[46:47], v[113:114]
	v_add_f64 v[115:116], v[46:47], v[115:116]
	v_add_f64 v[129:130], v[44:45], v[69:70]
	v_add_f64 v[52:53], v[44:45], v[52:53]
	v_add_f64 v[69:70], v[46:47], v[119:120]
	v_add_f64 v[119:120], v[46:47], v[121:122]
	v_add_f64 v[105:106], v[44:45], v[105:106]
	v_add_f64 v[56:57], v[44:45], v[56:57]
	v_add_f64 v[107:108], v[44:45], v[107:108]
	v_add_f64 v[121:122], v[46:47], v[125:126]
	v_add_f64 v[125:126], v[44:45], v[59:60]
	v_add_f64 v[109:110], v[44:45], v[109:110]
	v_fma_f64 v[117:118], v[67:68], s[16:17], -v[65:66]
	v_fma_f64 v[65:66], v[67:68], s[16:17], v[65:66]
	v_fma_f64 v[127:128], v[67:68], s[2:3], v[63:64]
	v_fma_f64 v[63:64], v[67:68], s[2:3], -v[63:64]
	v_add_f64 v[133:134], v[44:45], v[61:62]
	v_fma_f64 v[59:60], v[95:96], s[2:3], -v[157:158]
	v_add_f64 v[67:68], v[46:47], v[117:118]
	v_add_f64 v[117:118], v[46:47], v[65:66]
	;; [unrolled: 1-line block ×4, first 2 shown]
	v_fma_f64 v[44:45], v[99:100], s[14:15], v[137:138]
	v_add_f64 v[127:128], v[46:47], v[127:128]
	v_add_f64 v[135:136], v[46:47], v[63:64]
	v_fma_f64 v[46:47], v[101:102], s[14:15], -v[139:140]
	v_fma_f64 v[54:55], v[101:102], s[8:9], v[155:156]
	v_add_f64 v[44:45], v[44:45], v[52:53]
	v_fma_f64 v[52:53], v[95:96], s[12:13], v[141:142]
	s_delay_alu instid0(VALU_DEP_4) | instskip(NEXT) | instid1(VALU_DEP_4)
	v_add_f64 v[46:47], v[46:47], v[67:68]
	v_add_f64 v[54:55], v[54:55], v[69:70]
	s_delay_alu instid0(VALU_DEP_3) | instskip(SKIP_1) | instid1(VALU_DEP_1)
	v_add_f64 v[44:45], v[52:53], v[44:45]
	v_fma_f64 v[52:53], v[97:98], s[12:13], -v[143:144]
	v_add_f64 v[46:47], v[52:53], v[46:47]
	v_fma_f64 v[52:53], v[91:92], s[8:9], v[145:146]
	s_delay_alu instid0(VALU_DEP_1) | instskip(SKIP_1) | instid1(VALU_DEP_1)
	v_add_f64 v[44:45], v[52:53], v[44:45]
	v_fma_f64 v[52:53], v[93:94], s[8:9], -v[147:148]
	v_add_f64 v[46:47], v[52:53], v[46:47]
	v_fma_f64 v[52:53], v[87:88], s[2:3], v[149:150]
	s_delay_alu instid0(VALU_DEP_1) | instskip(SKIP_1) | instid1(VALU_DEP_1)
	v_add_f64 v[44:45], v[52:53], v[44:45]
	v_fma_f64 v[52:53], v[89:90], s[2:3], -v[151:152]
	v_add_f64 v[46:47], v[52:53], v[46:47]
	v_fma_f64 v[52:53], v[99:100], s[8:9], -v[153:154]
	s_delay_alu instid0(VALU_DEP_1) | instskip(NEXT) | instid1(VALU_DEP_1)
	v_add_f64 v[52:53], v[52:53], v[65:66]
	v_add_f64 v[52:53], v[59:60], v[52:53]
	v_fma_f64 v[59:60], v[97:98], s[2:3], v[159:160]
	s_delay_alu instid0(VALU_DEP_1) | instskip(SKIP_1) | instid1(VALU_DEP_1)
	v_add_f64 v[54:55], v[59:60], v[54:55]
	v_fma_f64 v[59:60], v[91:92], s[12:13], -v[161:162]
	v_add_f64 v[52:53], v[59:60], v[52:53]
	v_fma_f64 v[59:60], v[93:94], s[12:13], v[163:164]
	s_delay_alu instid0(VALU_DEP_1) | instskip(SKIP_1) | instid1(VALU_DEP_1)
	v_add_f64 v[54:55], v[59:60], v[54:55]
	v_fma_f64 v[59:60], v[87:88], s[16:17], -v[165:166]
	;; [unrolled: 5-line block ×3, first 2 shown]
	v_add_f64 v[59:60], v[59:60], v[105:106]
	v_mul_f64 v[105:106], v[85:86], s[28:29]
	s_delay_alu instid0(VALU_DEP_1) | instskip(NEXT) | instid1(VALU_DEP_1)
	v_fma_f64 v[61:62], v[101:102], s[2:3], v[105:106]
	v_add_f64 v[61:62], v[61:62], v[119:120]
	v_mul_f64 v[119:120], v[77:78], s[36:37]
	s_delay_alu instid0(VALU_DEP_1) | instskip(NEXT) | instid1(VALU_DEP_1)
	v_fma_f64 v[63:64], v[95:96], s[14:15], -v[119:120]
	v_add_f64 v[59:60], v[63:64], v[59:60]
	v_fma_f64 v[63:64], v[97:98], s[14:15], v[171:172]
	s_delay_alu instid0(VALU_DEP_1) | instskip(SKIP_1) | instid1(VALU_DEP_1)
	v_add_f64 v[61:62], v[63:64], v[61:62]
	v_fma_f64 v[63:64], v[91:92], s[16:17], -v[173:174]
	v_add_f64 v[59:60], v[63:64], v[59:60]
	v_fma_f64 v[63:64], v[93:94], s[16:17], v[175:176]
	s_delay_alu instid0(VALU_DEP_1) | instskip(SKIP_1) | instid1(VALU_DEP_1)
	v_add_f64 v[61:62], v[63:64], v[61:62]
	;; [unrolled: 5-line block ×3, first 2 shown]
	v_fma_f64 v[63:64], v[99:100], s[12:13], -v[181:182]
	v_add_f64 v[63:64], v[63:64], v[107:108]
	v_mul_f64 v[107:108], v[85:86], s[30:31]
	v_mul_f64 v[85:86], v[85:86], s[34:35]
	s_delay_alu instid0(VALU_DEP_2) | instskip(NEXT) | instid1(VALU_DEP_2)
	v_fma_f64 v[65:66], v[101:102], s[12:13], v[107:108]
	v_fma_f64 v[69:70], v[101:102], s[16:17], v[85:86]
	v_fma_f64 v[85:86], v[101:102], s[16:17], -v[85:86]
	s_delay_alu instid0(VALU_DEP_3) | instskip(SKIP_4) | instid1(VALU_DEP_4)
	v_add_f64 v[65:66], v[65:66], v[121:122]
	v_mul_f64 v[121:122], v[77:78], s[20:21]
	v_mul_f64 v[77:78], v[77:78], s[18:19]
	v_add_f64 v[69:70], v[69:70], v[127:128]
	v_add_f64 v[85:86], v[85:86], v[135:136]
	v_fma_f64 v[67:68], v[95:96], s[16:17], -v[121:122]
	s_delay_alu instid0(VALU_DEP_1) | instskip(SKIP_1) | instid1(VALU_DEP_1)
	v_add_f64 v[63:64], v[67:68], v[63:64]
	v_fma_f64 v[67:68], v[97:98], s[16:17], v[183:184]
	v_add_f64 v[65:66], v[67:68], v[65:66]
	v_fma_f64 v[67:68], v[91:92], s[2:3], -v[189:190]
	s_delay_alu instid0(VALU_DEP_1) | instskip(SKIP_1) | instid1(VALU_DEP_1)
	v_add_f64 v[63:64], v[67:68], v[63:64]
	v_fma_f64 v[67:68], v[93:94], s[2:3], v[191:192]
	;; [unrolled: 5-line block ×3, first 2 shown]
	v_add_f64 v[65:66], v[67:68], v[65:66]
	v_fma_f64 v[67:68], v[99:100], s[16:17], -v[75:76]
	v_fma_f64 v[75:76], v[99:100], s[16:17], v[75:76]
	s_delay_alu instid0(VALU_DEP_2) | instskip(SKIP_1) | instid1(VALU_DEP_3)
	v_add_f64 v[67:68], v[67:68], v[109:110]
	v_fma_f64 v[109:110], v[95:96], s[8:9], -v[77:78]
	v_add_f64 v[75:76], v[75:76], v[133:134]
	v_fma_f64 v[77:78], v[95:96], s[8:9], v[77:78]
	s_delay_alu instid0(VALU_DEP_3) | instskip(SKIP_1) | instid1(VALU_DEP_3)
	v_add_f64 v[67:68], v[109:110], v[67:68]
	v_fma_f64 v[109:110], v[97:98], s[8:9], v[79:80]
	v_add_f64 v[75:76], v[77:78], v[75:76]
	v_fma_f64 v[77:78], v[97:98], s[8:9], -v[79:80]
	v_fma_f64 v[79:80], v[95:96], s[16:17], v[121:122]
	s_delay_alu instid0(VALU_DEP_4) | instskip(SKIP_4) | instid1(VALU_DEP_4)
	v_add_f64 v[69:70], v[109:110], v[69:70]
	v_fma_f64 v[109:110], v[91:92], s[14:15], -v[71:72]
	v_fma_f64 v[71:72], v[91:92], s[14:15], v[71:72]
	v_add_f64 v[77:78], v[77:78], v[85:86]
	v_fma_f64 v[85:86], v[95:96], s[2:3], v[157:158]
	v_add_f64 v[67:68], v[109:110], v[67:68]
	;; [unrolled: 2-line block ×3, first 2 shown]
	v_fma_f64 v[73:74], v[93:94], s[14:15], -v[73:74]
	v_fma_f64 v[75:76], v[87:88], s[12:13], v[83:84]
	s_delay_alu instid0(VALU_DEP_4) | instskip(SKIP_1) | instid1(VALU_DEP_4)
	v_add_f64 v[69:70], v[109:110], v[69:70]
	v_fma_f64 v[109:110], v[87:88], s[12:13], -v[83:84]
	v_add_f64 v[73:74], v[73:74], v[77:78]
	v_fma_f64 v[77:78], v[89:90], s[12:13], -v[81:82]
	v_add_f64 v[71:72], v[75:76], v[71:72]
	v_fma_f64 v[75:76], v[99:100], s[12:13], v[181:182]
	v_fma_f64 v[83:84], v[89:90], s[8:9], -v[179:180]
	v_add_f64 v[67:68], v[109:110], v[67:68]
	v_fma_f64 v[109:110], v[89:90], s[12:13], v[81:82]
	v_add_f64 v[73:74], v[77:78], v[73:74]
	v_fma_f64 v[77:78], v[101:102], s[12:13], -v[107:108]
	v_add_f64 v[75:76], v[75:76], v[125:126]
	v_fma_f64 v[81:82], v[89:90], s[14:15], -v[195:196]
	v_add_f64 v[69:70], v[109:110], v[69:70]
	s_delay_alu instid0(VALU_DEP_4) | instskip(NEXT) | instid1(VALU_DEP_4)
	v_add_f64 v[77:78], v[77:78], v[115:116]
	v_add_f64 v[75:76], v[79:80], v[75:76]
	v_fma_f64 v[79:80], v[97:98], s[16:17], -v[183:184]
	s_delay_alu instid0(VALU_DEP_1) | instskip(SKIP_3) | instid1(VALU_DEP_1)
	v_add_f64 v[77:78], v[79:80], v[77:78]
	v_fma_f64 v[79:80], v[91:92], s[2:3], v[189:190]
	v_lshl_add_u32 v190, v0, 4, v255
	v_and_b32_e32 v0, 0xff, v58
	v_mul_lo_u16 v0, 0x75, v0
	s_delay_alu instid0(VALU_DEP_1) | instskip(NEXT) | instid1(VALU_DEP_1)
	v_lshrrev_b16 v0, 8, v0
	v_sub_nc_u16 v1, v58, v0
	s_delay_alu instid0(VALU_DEP_1) | instskip(NEXT) | instid1(VALU_DEP_1)
	v_lshrrev_b16 v1, 1, v1
	v_and_b32_e32 v1, 0x7f, v1
	s_delay_alu instid0(VALU_DEP_1) | instskip(NEXT) | instid1(VALU_DEP_1)
	v_add_nc_u16 v0, v1, v0
	v_lshrrev_b16 v189, 3, v0
	v_add_f64 v[75:76], v[79:80], v[75:76]
	v_fma_f64 v[79:80], v[93:94], s[2:3], -v[191:192]
	s_delay_alu instid0(VALU_DEP_3) | instskip(NEXT) | instid1(VALU_DEP_1)
	v_mul_lo_u16 v0, v189, 11
	v_sub_nc_u16 v0, v58, v0
	s_delay_alu instid0(VALU_DEP_1) | instskip(NEXT) | instid1(VALU_DEP_1)
	v_and_b32_e32 v126, 0xff, v0
	v_mul_u32_u24_e32 v0, 10, v126
	v_add_f64 v[77:78], v[79:80], v[77:78]
	v_fma_f64 v[79:80], v[87:88], s[14:15], v[193:194]
	s_delay_alu instid0(VALU_DEP_2) | instskip(NEXT) | instid1(VALU_DEP_2)
	v_add_f64 v[77:78], v[81:82], v[77:78]
	v_add_f64 v[75:76], v[79:80], v[75:76]
	v_fma_f64 v[79:80], v[99:100], s[2:3], v[169:170]
	v_fma_f64 v[81:82], v[95:96], s[14:15], v[119:120]
	v_fma_f64 v[95:96], v[95:96], s[12:13], -v[141:142]
	s_delay_alu instid0(VALU_DEP_3) | instskip(SKIP_1) | instid1(VALU_DEP_2)
	v_add_f64 v[56:57], v[79:80], v[56:57]
	v_fma_f64 v[79:80], v[101:102], s[2:3], -v[105:106]
	v_add_f64 v[56:57], v[81:82], v[56:57]
	s_delay_alu instid0(VALU_DEP_2) | instskip(SKIP_1) | instid1(VALU_DEP_1)
	v_add_f64 v[79:80], v[79:80], v[113:114]
	v_fma_f64 v[81:82], v[97:98], s[14:15], -v[171:172]
	v_add_f64 v[79:80], v[81:82], v[79:80]
	v_fma_f64 v[81:82], v[91:92], s[16:17], v[173:174]
	s_delay_alu instid0(VALU_DEP_1) | instskip(SKIP_1) | instid1(VALU_DEP_1)
	v_add_f64 v[56:57], v[81:82], v[56:57]
	v_fma_f64 v[81:82], v[93:94], s[16:17], -v[175:176]
	v_add_f64 v[81:82], v[81:82], v[79:80]
	v_fma_f64 v[79:80], v[87:88], s[8:9], v[177:178]
	s_delay_alu instid0(VALU_DEP_2) | instskip(NEXT) | instid1(VALU_DEP_2)
	v_add_f64 v[81:82], v[83:84], v[81:82]
	v_add_f64 v[79:80], v[79:80], v[56:57]
	v_fma_f64 v[56:57], v[99:100], s[8:9], v[153:154]
	v_fma_f64 v[83:84], v[101:102], s[8:9], -v[155:156]
	s_delay_alu instid0(VALU_DEP_2) | instskip(NEXT) | instid1(VALU_DEP_2)
	v_add_f64 v[56:57], v[56:57], v[103:104]
	v_add_f64 v[83:84], v[83:84], v[111:112]
	v_fma_f64 v[103:104], v[89:90], s[16:17], -v[167:168]
	v_fma_f64 v[89:90], v[89:90], s[2:3], v[151:152]
	s_delay_alu instid0(VALU_DEP_4) | instskip(SKIP_2) | instid1(VALU_DEP_2)
	v_add_f64 v[56:57], v[85:86], v[56:57]
	v_fma_f64 v[85:86], v[97:98], s[2:3], -v[159:160]
	v_fma_f64 v[97:98], v[97:98], s[12:13], v[143:144]
	v_add_f64 v[83:84], v[85:86], v[83:84]
	v_fma_f64 v[85:86], v[91:92], s[12:13], v[161:162]
	v_fma_f64 v[91:92], v[91:92], s[8:9], -v[145:146]
	s_delay_alu instid0(VALU_DEP_2) | instskip(SKIP_2) | instid1(VALU_DEP_2)
	v_add_f64 v[56:57], v[85:86], v[56:57]
	v_fma_f64 v[85:86], v[93:94], s[12:13], -v[163:164]
	v_fma_f64 v[93:94], v[93:94], s[8:9], v[147:148]
	v_add_f64 v[85:86], v[85:86], v[83:84]
	v_fma_f64 v[83:84], v[87:88], s[16:17], v[165:166]
	v_fma_f64 v[87:88], v[87:88], s[2:3], -v[149:150]
	s_delay_alu instid0(VALU_DEP_3) | instskip(NEXT) | instid1(VALU_DEP_3)
	v_add_f64 v[85:86], v[103:104], v[85:86]
	v_add_f64 v[83:84], v[83:84], v[56:57]
	v_fma_f64 v[56:57], v[99:100], s[14:15], -v[137:138]
	v_fma_f64 v[99:100], v[101:102], s[14:15], v[139:140]
	s_delay_alu instid0(VALU_DEP_2) | instskip(NEXT) | instid1(VALU_DEP_2)
	v_add_f64 v[56:57], v[56:57], v[129:130]
	v_add_f64 v[99:100], v[99:100], v[117:118]
	s_delay_alu instid0(VALU_DEP_2) | instskip(NEXT) | instid1(VALU_DEP_2)
	v_add_f64 v[56:57], v[95:96], v[56:57]
	v_add_f64 v[95:96], v[97:98], v[99:100]
	;; [unrolled: 3-line block ×4, first 2 shown]
	ds_store_b128 v190, v[52:55] offset:32
	ds_store_b128 v190, v[59:62] offset:48
	;; [unrolled: 1-line block ×10, first 2 shown]
	ds_store_b128 v190, v[48:51]
	v_lshlrev_b32_e32 v76, 4, v0
	s_waitcnt lgkmcnt(0)
	s_barrier
	buffer_gl0_inv
	ds_load_b128 v[44:47], v186 offset:1936
	ds_load_b128 v[127:130], v186
	s_clause 0x3
	global_load_b128 v[48:51], v76, s[10:11]
	global_load_b128 v[56:59], v76, s[10:11] offset:16
	global_load_b128 v[104:107], v76, s[10:11] offset:144
	;; [unrolled: 1-line block ×3, first 2 shown]
	s_waitcnt vmcnt(3) lgkmcnt(1)
	v_mul_f64 v[52:53], v[46:47], v[50:51]
	s_delay_alu instid0(VALU_DEP_1)
	v_fma_f64 v[90:91], v[44:45], v[48:49], -v[52:53]
	v_mul_f64 v[44:45], v[44:45], v[50:51]
	ds_load_b128 v[52:55], v186 offset:19360
	v_fma_f64 v[133:134], v[46:47], v[48:49], v[44:45]
	s_waitcnt vmcnt(1) lgkmcnt(0)
	v_mul_f64 v[44:45], v[52:53], v[106:107]
	v_mul_f64 v[46:47], v[54:55], v[106:107]
	s_delay_alu instid0(VALU_DEP_2) | instskip(NEXT) | instid1(VALU_DEP_2)
	v_fma_f64 v[44:45], v[54:55], v[104:105], v[44:45]
	v_fma_f64 v[46:47], v[52:53], v[104:105], -v[46:47]
	ds_load_b128 v[52:55], v186 offset:3872
	ds_load_b128 v[64:67], v186 offset:5808
	;; [unrolled: 1-line block ×4, first 2 shown]
	s_clause 0x3
	global_load_b128 v[112:115], v76, s[10:11] offset:32
	global_load_b128 v[100:103], v76, s[10:11] offset:48
	;; [unrolled: 1-line block ×4, first 2 shown]
	ds_load_b128 v[77:80], v186 offset:7744
	ds_load_b128 v[81:84], v186 offset:9680
	s_clause 0x1
	global_load_b128 v[120:123], v76, s[10:11] offset:64
	global_load_b128 v[108:111], v76, s[10:11] offset:80
	s_waitcnt lgkmcnt(5)
	v_mul_f64 v[60:61], v[54:55], v[58:59]
	v_add_f64 v[163:164], v[133:134], v[44:45]
	v_add_f64 v[143:144], v[90:91], v[46:47]
	s_delay_alu instid0(VALU_DEP_3) | instskip(SKIP_1) | instid1(VALU_DEP_1)
	v_fma_f64 v[60:61], v[52:53], v[56:57], -v[60:61]
	v_mul_f64 v[52:53], v[52:53], v[58:59]
	v_fma_f64 v[62:63], v[54:55], v[56:57], v[52:53]
	s_waitcnt vmcnt(6) lgkmcnt(3)
	v_mul_f64 v[54:55], v[70:71], v[98:99]
	v_mul_f64 v[52:53], v[68:69], v[98:99]
	s_delay_alu instid0(VALU_DEP_2) | instskip(NEXT) | instid1(VALU_DEP_2)
	v_fma_f64 v[54:55], v[68:69], v[96:97], -v[54:55]
	v_fma_f64 v[52:53], v[70:71], v[96:97], v[52:53]
	s_delay_alu instid0(VALU_DEP_2) | instskip(NEXT) | instid1(VALU_DEP_2)
	v_add_f64 v[181:182], v[60:61], v[54:55]
	v_add_f64 v[179:180], v[62:63], -v[52:53]
	v_add_f64 v[191:192], v[60:61], -v[54:55]
	v_add_f64 v[193:194], v[62:63], v[52:53]
	s_delay_alu instid0(VALU_DEP_3) | instskip(NEXT) | instid1(VALU_DEP_3)
	v_mul_f64 v[183:184], v[179:180], s[26:27]
	v_mul_f64 v[195:196], v[191:192], s[26:27]
	;; [unrolled: 1-line block ×7, first 2 shown]
	s_delay_alu instid0(VALU_DEP_1) | instskip(SKIP_3) | instid1(VALU_DEP_1)
	v_fma_f64 v[6:7], v[181:182], s[12:13], -v[8:9]
	v_fma_f64 v[8:9], v[181:182], s[12:13], v[8:9]
	s_waitcnt vmcnt(5)
	v_mul_f64 v[68:69], v[66:67], v[114:115]
	v_fma_f64 v[68:69], v[64:65], v[112:113], -v[68:69]
	v_mul_f64 v[64:65], v[64:65], v[114:115]
	s_delay_alu instid0(VALU_DEP_1) | instskip(SKIP_3) | instid1(VALU_DEP_2)
	v_fma_f64 v[70:71], v[66:67], v[112:113], v[64:65]
	s_waitcnt vmcnt(3) lgkmcnt(2)
	v_mul_f64 v[64:65], v[72:73], v[118:119]
	v_mul_f64 v[66:67], v[74:75], v[118:119]
	v_fma_f64 v[64:65], v[74:75], v[116:117], v[64:65]
	s_delay_alu instid0(VALU_DEP_2) | instskip(SKIP_3) | instid1(VALU_DEP_4)
	v_fma_f64 v[66:67], v[72:73], v[116:117], -v[66:67]
	s_waitcnt lgkmcnt(1)
	v_mul_f64 v[72:73], v[79:80], v[102:103]
	v_mul_f64 v[74:75], v[77:78], v[102:103]
	v_add_f64 v[197:198], v[70:71], -v[64:65]
	s_delay_alu instid0(VALU_DEP_4) | instskip(NEXT) | instid1(VALU_DEP_4)
	v_add_f64 v[199:200], v[68:69], v[66:67]
	v_fma_f64 v[72:73], v[77:78], v[100:101], -v[72:73]
	s_delay_alu instid0(VALU_DEP_4)
	v_fma_f64 v[74:75], v[79:80], v[100:101], v[74:75]
	s_waitcnt vmcnt(1) lgkmcnt(0)
	v_mul_f64 v[76:77], v[83:84], v[122:123]
	v_mul_f64 v[78:79], v[81:82], v[122:123]
	v_add_f64 v[203:204], v[68:69], -v[66:67]
	v_add_f64 v[205:206], v[70:71], v[64:65]
	v_mul_f64 v[201:202], v[197:198], s[24:25]
	v_mul_f64 v[237:238], v[197:198], s[28:29]
	;; [unrolled: 1-line block ×3, first 2 shown]
	v_fma_f64 v[76:77], v[81:82], v[120:121], -v[76:77]
	v_fma_f64 v[78:79], v[83:84], v[120:121], v[78:79]
	ds_load_b128 v[82:85], v186 offset:11616
	ds_load_b128 v[86:89], v186 offset:13552
	v_mul_f64 v[207:208], v[203:204], s[24:25]
	v_mul_f64 v[239:240], v[203:204], s[28:29]
	v_mul_f64 v[131:132], v[203:204], s[36:37]
	v_mul_f64 v[4:5], v[203:204], s[20:21]
	s_waitcnt vmcnt(0) lgkmcnt(0)
	s_barrier
	buffer_gl0_inv
	v_mul_f64 v[80:81], v[84:85], v[110:111]
	v_fma_f64 v[10:11], v[205:206], s[16:17], v[4:5]
	v_fma_f64 v[4:5], v[205:206], s[16:17], -v[4:5]
	s_delay_alu instid0(VALU_DEP_3) | instskip(SKIP_1) | instid1(VALU_DEP_2)
	v_fma_f64 v[80:81], v[82:83], v[108:109], -v[80:81]
	v_mul_f64 v[82:83], v[82:83], v[110:111]
	v_add_f64 v[223:224], v[76:77], v[80:81]
	s_delay_alu instid0(VALU_DEP_2) | instskip(SKIP_2) | instid1(VALU_DEP_3)
	v_fma_f64 v[82:83], v[84:85], v[108:109], v[82:83]
	v_mul_f64 v[84:85], v[88:89], v[94:95]
	v_add_f64 v[227:228], v[76:77], -v[80:81]
	v_add_f64 v[221:222], v[78:79], -v[82:83]
	s_delay_alu instid0(VALU_DEP_3)
	v_fma_f64 v[84:85], v[86:87], v[92:93], -v[84:85]
	v_mul_f64 v[86:87], v[86:87], v[94:95]
	v_add_f64 v[229:230], v[78:79], v[82:83]
	v_mul_f64 v[231:232], v[227:228], s[22:23]
	v_mul_f64 v[247:248], v[227:228], s[34:35]
	;; [unrolled: 1-line block ×4, first 2 shown]
	v_add_f64 v[211:212], v[72:73], v[84:85]
	v_fma_f64 v[86:87], v[88:89], v[92:93], v[86:87]
	v_add_f64 v[88:89], v[133:134], -v[44:45]
	v_add_f64 v[215:216], v[72:73], -v[84:85]
	v_mul_f64 v[245:246], v[221:222], s[34:35]
	v_mul_f64 v[0:1], v[221:222], s[36:37]
	v_add_f64 v[209:210], v[74:75], -v[86:87]
	v_mul_f64 v[135:136], v[88:89], s[20:21]
	v_mul_f64 v[137:138], v[88:89], s[26:27]
	;; [unrolled: 1-line block ×5, first 2 shown]
	v_add_f64 v[217:218], v[74:75], v[86:87]
	v_mul_f64 v[219:220], v[215:216], s[18:19]
	v_mul_f64 v[243:244], v[215:216], s[30:31]
	;; [unrolled: 1-line block ×3, first 2 shown]
	v_fma_f64 v[18:19], v[223:224], s[14:15], -v[0:1]
	v_fma_f64 v[0:1], v[223:224], s[14:15], v[0:1]
	v_mul_f64 v[213:214], v[209:210], s[18:19]
	v_fma_f64 v[145:146], v[143:144], s[16:17], -v[135:136]
	v_fma_f64 v[135:136], v[143:144], s[16:17], v[135:136]
	v_fma_f64 v[147:148], v[143:144], s[14:15], -v[137:138]
	v_fma_f64 v[137:138], v[143:144], s[14:15], v[137:138]
	;; [unrolled: 2-line block ×5, first 2 shown]
	v_add_f64 v[88:89], v[90:91], -v[46:47]
	v_mul_f64 v[241:242], v[209:210], s[30:31]
	v_mul_f64 v[16:17], v[209:210], s[20:21]
	v_add_f64 v[175:176], v[127:128], v[145:146]
	v_add_f64 v[145:146], v[127:128], v[147:148]
	;; [unrolled: 1-line block ×4, first 2 shown]
	v_mul_f64 v[155:156], v[88:89], s[20:21]
	v_mul_f64 v[157:158], v[88:89], s[26:27]
	;; [unrolled: 1-line block ×5, first 2 shown]
	v_fma_f64 v[2:3], v[211:212], s[16:17], -v[16:17]
	v_add_f64 v[6:7], v[6:7], v[151:152]
	v_mul_f64 v[151:152], v[191:192], s[30:31]
	v_fma_f64 v[165:166], v[163:164], s[16:17], v[155:156]
	v_fma_f64 v[155:156], v[163:164], s[16:17], -v[155:156]
	v_fma_f64 v[167:168], v[163:164], s[14:15], v[157:158]
	v_fma_f64 v[157:158], v[163:164], s[14:15], -v[157:158]
	v_fma_f64 v[169:170], v[163:164], s[12:13], v[159:160]
	v_fma_f64 v[171:172], v[163:164], s[8:9], v[161:162]
	;; [unrolled: 1-line block ×3, first 2 shown]
	v_fma_f64 v[159:160], v[163:164], s[12:13], -v[159:160]
	v_fma_f64 v[161:162], v[163:164], s[8:9], -v[161:162]
	;; [unrolled: 1-line block ×3, first 2 shown]
	v_add_f64 v[88:89], v[127:128], v[90:91]
	v_add_f64 v[90:91], v[129:130], v[133:134]
	;; [unrolled: 1-line block ×15, first 2 shown]
	v_fma_f64 v[127:128], v[181:182], s[14:15], v[183:184]
	v_add_f64 v[159:160], v[129:130], v[159:160]
	v_add_f64 v[161:162], v[129:130], v[161:162]
	v_add_f64 v[163:164], v[129:130], v[163:164]
	v_fma_f64 v[129:130], v[193:194], s[14:15], -v[195:196]
	v_fma_f64 v[139:140], v[199:200], s[2:3], -v[237:238]
	;; [unrolled: 1-line block ×3, first 2 shown]
	v_add_f64 v[8:9], v[8:9], v[169:170]
	v_add_f64 v[127:128], v[127:128], v[133:134]
	v_fma_f64 v[133:134], v[199:200], s[12:13], v[201:202]
	v_add_f64 v[129:130], v[129:130], v[135:136]
	v_fma_f64 v[135:136], v[193:194], s[8:9], v[235:236]
	s_delay_alu instid0(VALU_DEP_3) | instskip(SKIP_1) | instid1(VALU_DEP_3)
	v_add_f64 v[127:128], v[133:134], v[127:128]
	v_fma_f64 v[133:134], v[205:206], s[12:13], -v[207:208]
	v_add_f64 v[135:136], v[135:136], v[147:148]
	s_delay_alu instid0(VALU_DEP_2) | instskip(SKIP_1) | instid1(VALU_DEP_1)
	v_add_f64 v[129:130], v[133:134], v[129:130]
	v_fma_f64 v[133:134], v[211:212], s[8:9], v[213:214]
	v_add_f64 v[127:128], v[133:134], v[127:128]
	v_fma_f64 v[133:134], v[217:218], s[8:9], -v[219:220]
	s_delay_alu instid0(VALU_DEP_1) | instskip(SKIP_1) | instid1(VALU_DEP_1)
	v_add_f64 v[129:130], v[133:134], v[129:130]
	v_fma_f64 v[133:134], v[223:224], s[2:3], v[225:226]
	v_add_f64 v[127:128], v[133:134], v[127:128]
	v_fma_f64 v[133:134], v[229:230], s[2:3], -v[231:232]
	s_delay_alu instid0(VALU_DEP_1) | instskip(SKIP_1) | instid1(VALU_DEP_1)
	v_add_f64 v[129:130], v[133:134], v[129:130]
	v_fma_f64 v[133:134], v[181:182], s[8:9], -v[233:234]
	v_add_f64 v[133:134], v[133:134], v[145:146]
	s_delay_alu instid0(VALU_DEP_1) | instskip(SKIP_1) | instid1(VALU_DEP_1)
	v_add_f64 v[133:134], v[139:140], v[133:134]
	v_fma_f64 v[139:140], v[205:206], s[2:3], v[239:240]
	v_add_f64 v[135:136], v[139:140], v[135:136]
	v_fma_f64 v[139:140], v[211:212], s[12:13], -v[241:242]
	s_delay_alu instid0(VALU_DEP_1) | instskip(SKIP_1) | instid1(VALU_DEP_1)
	v_add_f64 v[133:134], v[139:140], v[133:134]
	v_fma_f64 v[139:140], v[217:218], s[12:13], v[243:244]
	v_add_f64 v[135:136], v[139:140], v[135:136]
	v_fma_f64 v[139:140], v[223:224], s[16:17], -v[245:246]
	;; [unrolled: 5-line block ×3, first 2 shown]
	s_delay_alu instid0(VALU_DEP_1) | instskip(SKIP_1) | instid1(VALU_DEP_2)
	v_add_f64 v[137:138], v[139:140], v[137:138]
	v_fma_f64 v[139:140], v[193:194], s[2:3], v[251:252]
	v_add_f64 v[137:138], v[141:142], v[137:138]
	s_delay_alu instid0(VALU_DEP_2) | instskip(SKIP_2) | instid1(VALU_DEP_4)
	v_add_f64 v[139:140], v[139:140], v[149:150]
	v_fma_f64 v[141:142], v[205:206], s[14:15], v[131:132]
	v_mul_f64 v[149:150], v[221:222], s[18:19]
	v_add_f64 v[2:3], v[2:3], v[137:138]
	v_fma_f64 v[137:138], v[217:218], s[16:17], v[124:125]
	s_delay_alu instid0(VALU_DEP_4) | instskip(SKIP_1) | instid1(VALU_DEP_2)
	v_add_f64 v[139:140], v[141:142], v[139:140]
	v_fma_f64 v[141:142], v[229:230], s[8:9], v[12:13]
	v_add_f64 v[139:140], v[137:138], v[139:140]
	v_fma_f64 v[137:138], v[223:224], s[8:9], -v[149:150]
	s_delay_alu instid0(VALU_DEP_2) | instskip(SKIP_1) | instid1(VALU_DEP_3)
	v_add_f64 v[139:140], v[141:142], v[139:140]
	v_fma_f64 v[141:142], v[193:194], s[12:13], v[151:152]
	v_add_f64 v[137:138], v[137:138], v[2:3]
	v_mul_f64 v[2:3], v[209:210], s[22:23]
	s_delay_alu instid0(VALU_DEP_3) | instskip(SKIP_1) | instid1(VALU_DEP_3)
	v_add_f64 v[141:142], v[141:142], v[155:156]
	v_mul_f64 v[155:156], v[197:198], s[20:21]
	v_fma_f64 v[14:15], v[211:212], s[2:3], -v[2:3]
	v_fma_f64 v[2:3], v[211:212], s[2:3], v[2:3]
	s_delay_alu instid0(VALU_DEP_4) | instskip(NEXT) | instid1(VALU_DEP_4)
	v_add_f64 v[10:11], v[10:11], v[141:142]
	v_fma_f64 v[143:144], v[199:200], s[16:17], -v[155:156]
	s_delay_alu instid0(VALU_DEP_1) | instskip(NEXT) | instid1(VALU_DEP_1)
	v_add_f64 v[6:7], v[143:144], v[6:7]
	v_add_f64 v[6:7], v[14:15], v[6:7]
	v_mul_f64 v[14:15], v[215:216], s[22:23]
	s_delay_alu instid0(VALU_DEP_1) | instskip(NEXT) | instid1(VALU_DEP_1)
	v_fma_f64 v[141:142], v[217:218], s[2:3], v[14:15]
	v_add_f64 v[10:11], v[141:142], v[10:11]
	s_delay_alu instid0(VALU_DEP_4) | instskip(SKIP_1) | instid1(VALU_DEP_1)
	v_add_f64 v[141:142], v[18:19], v[6:7]
	v_mul_f64 v[6:7], v[227:228], s[36:37]
	v_fma_f64 v[18:19], v[229:230], s[14:15], v[6:7]
	v_fma_f64 v[6:7], v[229:230], s[14:15], -v[6:7]
	s_delay_alu instid0(VALU_DEP_2) | instskip(SKIP_3) | instid1(VALU_DEP_3)
	v_add_f64 v[143:144], v[18:19], v[10:11]
	v_mul_f64 v[10:11], v[179:180], s[34:35]
	v_mul_f64 v[179:180], v[203:204], s[18:19]
	v_mul_f64 v[203:204], v[221:222], s[24:25]
	v_fma_f64 v[18:19], v[181:182], s[16:17], -v[10:11]
	v_fma_f64 v[10:11], v[181:182], s[16:17], v[10:11]
	s_delay_alu instid0(VALU_DEP_2) | instskip(SKIP_4) | instid1(VALU_DEP_4)
	v_add_f64 v[18:19], v[18:19], v[153:154]
	v_mul_f64 v[153:154], v[191:192], s[34:35]
	v_mul_f64 v[191:192], v[209:210], s[36:37]
	;; [unrolled: 1-line block ×3, first 2 shown]
	v_add_f64 v[10:11], v[10:11], v[173:174]
	v_fma_f64 v[145:146], v[193:194], s[16:17], v[153:154]
	s_delay_alu instid0(VALU_DEP_1) | instskip(SKIP_2) | instid1(VALU_DEP_2)
	v_add_f64 v[145:146], v[145:146], v[171:172]
	v_mul_f64 v[171:172], v[197:198], s[18:19]
	v_mul_f64 v[197:198], v[215:216], s[36:37]
	v_fma_f64 v[147:148], v[199:200], s[8:9], -v[171:172]
	s_delay_alu instid0(VALU_DEP_1) | instskip(SKIP_1) | instid1(VALU_DEP_1)
	v_add_f64 v[18:19], v[147:148], v[18:19]
	v_fma_f64 v[147:148], v[205:206], s[8:9], v[179:180]
	v_add_f64 v[145:146], v[147:148], v[145:146]
	v_fma_f64 v[147:148], v[211:212], s[14:15], -v[191:192]
	s_delay_alu instid0(VALU_DEP_1) | instskip(SKIP_1) | instid1(VALU_DEP_1)
	v_add_f64 v[18:19], v[147:148], v[18:19]
	v_fma_f64 v[147:148], v[217:218], s[14:15], v[197:198]
	v_add_f64 v[147:148], v[147:148], v[145:146]
	;; [unrolled: 5-line block ×3, first 2 shown]
	v_fma_f64 v[18:19], v[193:194], s[16:17], -v[153:154]
	v_fma_f64 v[153:154], v[199:200], s[8:9], v[171:172]
	s_delay_alu instid0(VALU_DEP_2) | instskip(NEXT) | instid1(VALU_DEP_2)
	v_add_f64 v[18:19], v[18:19], v[163:164]
	v_add_f64 v[10:11], v[153:154], v[10:11]
	v_fma_f64 v[153:154], v[205:206], s[8:9], -v[179:180]
	v_fma_f64 v[163:164], v[229:230], s[12:13], -v[209:210]
	s_delay_alu instid0(VALU_DEP_2) | instskip(SKIP_1) | instid1(VALU_DEP_1)
	v_add_f64 v[18:19], v[153:154], v[18:19]
	v_fma_f64 v[153:154], v[211:212], s[14:15], v[191:192]
	v_add_f64 v[10:11], v[153:154], v[10:11]
	v_fma_f64 v[153:154], v[217:218], s[14:15], -v[197:198]
	s_delay_alu instid0(VALU_DEP_1) | instskip(SKIP_1) | instid1(VALU_DEP_2)
	v_add_f64 v[18:19], v[153:154], v[18:19]
	v_fma_f64 v[153:154], v[223:224], s[12:13], v[203:204]
	v_add_f64 v[173:174], v[163:164], v[18:19]
	s_delay_alu instid0(VALU_DEP_2) | instskip(SKIP_2) | instid1(VALU_DEP_2)
	v_add_f64 v[171:172], v[153:154], v[10:11]
	v_fma_f64 v[10:11], v[193:194], s[12:13], -v[151:152]
	v_fma_f64 v[18:19], v[199:200], s[16:17], v[155:156]
	v_add_f64 v[10:11], v[10:11], v[161:162]
	s_delay_alu instid0(VALU_DEP_2) | instskip(NEXT) | instid1(VALU_DEP_2)
	v_add_f64 v[8:9], v[18:19], v[8:9]
	v_add_f64 v[4:5], v[4:5], v[10:11]
	s_delay_alu instid0(VALU_DEP_2) | instskip(SKIP_2) | instid1(VALU_DEP_3)
	v_add_f64 v[2:3], v[2:3], v[8:9]
	v_fma_f64 v[8:9], v[217:218], s[2:3], -v[14:15]
	v_fma_f64 v[10:11], v[217:218], s[8:9], v[219:220]
	v_add_f64 v[153:154], v[0:1], v[2:3]
	s_delay_alu instid0(VALU_DEP_3) | instskip(SKIP_3) | instid1(VALU_DEP_4)
	v_add_f64 v[4:5], v[8:9], v[4:5]
	v_fma_f64 v[0:1], v[181:182], s[2:3], v[249:250]
	v_fma_f64 v[2:3], v[193:194], s[2:3], -v[251:252]
	v_fma_f64 v[8:9], v[211:212], s[8:9], -v[213:214]
	v_add_f64 v[155:156], v[6:7], v[4:5]
	s_delay_alu instid0(VALU_DEP_4) | instskip(SKIP_3) | instid1(VALU_DEP_3)
	v_add_f64 v[0:1], v[0:1], v[157:158]
	v_fma_f64 v[4:5], v[199:200], s[14:15], v[253:254]
	v_add_f64 v[2:3], v[2:3], v[159:160]
	v_fma_f64 v[6:7], v[229:230], s[8:9], -v[12:13]
	v_add_f64 v[0:1], v[4:5], v[0:1]
	v_fma_f64 v[4:5], v[205:206], s[14:15], -v[131:132]
	s_delay_alu instid0(VALU_DEP_1) | instskip(SKIP_1) | instid1(VALU_DEP_1)
	v_add_f64 v[2:3], v[4:5], v[2:3]
	v_fma_f64 v[4:5], v[211:212], s[16:17], v[16:17]
	v_add_f64 v[0:1], v[4:5], v[0:1]
	v_fma_f64 v[4:5], v[217:218], s[16:17], -v[124:125]
	s_delay_alu instid0(VALU_DEP_1) | instskip(SKIP_1) | instid1(VALU_DEP_2)
	v_add_f64 v[2:3], v[4:5], v[2:3]
	v_fma_f64 v[4:5], v[223:224], s[8:9], v[149:150]
	v_add_f64 v[159:160], v[6:7], v[2:3]
	s_delay_alu instid0(VALU_DEP_2) | instskip(SKIP_4) | instid1(VALU_DEP_4)
	v_add_f64 v[157:158], v[4:5], v[0:1]
	v_fma_f64 v[0:1], v[181:182], s[8:9], v[233:234]
	v_fma_f64 v[2:3], v[193:194], s[8:9], -v[235:236]
	v_fma_f64 v[4:5], v[199:200], s[2:3], v[237:238]
	v_fma_f64 v[6:7], v[229:230], s[16:17], -v[247:248]
	v_add_f64 v[0:1], v[0:1], v[167:168]
	s_delay_alu instid0(VALU_DEP_4) | instskip(NEXT) | instid1(VALU_DEP_2)
	v_add_f64 v[2:3], v[2:3], v[177:178]
	v_add_f64 v[0:1], v[4:5], v[0:1]
	v_fma_f64 v[4:5], v[205:206], s[2:3], -v[239:240]
	s_delay_alu instid0(VALU_DEP_1) | instskip(SKIP_1) | instid1(VALU_DEP_1)
	v_add_f64 v[2:3], v[4:5], v[2:3]
	v_fma_f64 v[4:5], v[211:212], s[12:13], v[241:242]
	v_add_f64 v[0:1], v[4:5], v[0:1]
	v_fma_f64 v[4:5], v[217:218], s[12:13], -v[243:244]
	s_delay_alu instid0(VALU_DEP_1) | instskip(SKIP_1) | instid1(VALU_DEP_2)
	v_add_f64 v[2:3], v[4:5], v[2:3]
	v_fma_f64 v[4:5], v[223:224], s[16:17], v[245:246]
	v_add_f64 v[163:164], v[6:7], v[2:3]
	s_delay_alu instid0(VALU_DEP_2) | instskip(SKIP_4) | instid1(VALU_DEP_4)
	v_add_f64 v[161:162], v[4:5], v[0:1]
	v_fma_f64 v[0:1], v[181:182], s[14:15], -v[183:184]
	v_fma_f64 v[2:3], v[193:194], s[14:15], v[195:196]
	v_fma_f64 v[4:5], v[199:200], s[12:13], -v[201:202]
	v_fma_f64 v[6:7], v[205:206], s[12:13], v[207:208]
	v_add_f64 v[0:1], v[0:1], v[175:176]
	s_delay_alu instid0(VALU_DEP_4) | instskip(NEXT) | instid1(VALU_DEP_2)
	v_add_f64 v[2:3], v[2:3], v[165:166]
	v_add_f64 v[0:1], v[4:5], v[0:1]
	s_delay_alu instid0(VALU_DEP_2) | instskip(SKIP_2) | instid1(VALU_DEP_4)
	v_add_f64 v[2:3], v[6:7], v[2:3]
	v_fma_f64 v[4:5], v[223:224], s[2:3], -v[225:226]
	v_fma_f64 v[6:7], v[229:230], s[2:3], v[231:232]
	v_add_f64 v[0:1], v[8:9], v[0:1]
	s_delay_alu instid0(VALU_DEP_4) | instskip(NEXT) | instid1(VALU_DEP_2)
	v_add_f64 v[2:3], v[10:11], v[2:3]
	v_add_f64 v[165:166], v[4:5], v[0:1]
	s_delay_alu instid0(VALU_DEP_2) | instskip(SKIP_2) | instid1(VALU_DEP_2)
	v_add_f64 v[167:168], v[6:7], v[2:3]
	v_add_f64 v[0:1], v[88:89], v[60:61]
	;; [unrolled: 1-line block ×4, first 2 shown]
	s_delay_alu instid0(VALU_DEP_2) | instskip(NEXT) | instid1(VALU_DEP_2)
	v_add_f64 v[2:3], v[2:3], v[70:71]
	v_add_f64 v[0:1], v[0:1], v[72:73]
	s_delay_alu instid0(VALU_DEP_2) | instskip(NEXT) | instid1(VALU_DEP_2)
	v_add_f64 v[2:3], v[2:3], v[74:75]
	v_add_f64 v[0:1], v[0:1], v[76:77]
	;; [unrolled: 3-line block ×7, first 2 shown]
	s_delay_alu instid0(VALU_DEP_2) | instskip(SKIP_1) | instid1(VALU_DEP_1)
	v_add_f64 v[54:55], v[2:3], v[44:45]
	v_and_b32_e32 v0, 0xffff, v189
	v_mul_u32_u24_e32 v0, 0x79, v0
	s_delay_alu instid0(VALU_DEP_1) | instskip(NEXT) | instid1(VALU_DEP_1)
	v_add_nc_u32_e32 v0, v0, v126
	v_lshl_add_u32 v189, v0, 4, v255
	v_mad_u64_u32 v[0:1], null, 0xa0, v185, s[10:11]
	ds_store_b128 v189, v[133:136] offset:352
	ds_store_b128 v189, v[137:140] offset:528
	;; [unrolled: 1-line block ×10, first 2 shown]
	ds_store_b128 v189, v[52:55]
	s_waitcnt lgkmcnt(0)
	s_barrier
	buffer_gl0_inv
	s_clause 0x1
	global_load_b128 v[44:47], v[0:1], off offset:1760
	global_load_b128 v[52:55], v[0:1], off offset:1776
	ds_load_b128 v[60:63], v186 offset:1936
	ds_load_b128 v[173:176], v186
	s_mov_b32 s11, 0x3fe82f19
	s_mov_b32 s10, s18
	s_waitcnt vmcnt(1) lgkmcnt(1)
	v_mul_f64 v[2:3], v[62:63], v[46:47]
	v_mul_f64 v[4:5], v[60:61], v[46:47]
	s_delay_alu instid0(VALU_DEP_2) | instskip(NEXT) | instid1(VALU_DEP_2)
	v_fma_f64 v[2:3], v[60:61], v[44:45], -v[2:3]
	v_fma_f64 v[4:5], v[62:63], v[44:45], v[4:5]
	s_clause 0x1
	global_load_b128 v[72:75], v[0:1], off offset:1904
	global_load_b128 v[60:63], v[0:1], off offset:1888
	ds_load_b128 v[64:67], v186 offset:19360
	s_waitcnt vmcnt(1) lgkmcnt(0)
	v_mul_f64 v[6:7], v[64:65], v[74:75]
	s_delay_alu instid0(VALU_DEP_1) | instskip(SKIP_1) | instid1(VALU_DEP_2)
	v_fma_f64 v[124:125], v[66:67], v[72:73], v[6:7]
	v_mul_f64 v[6:7], v[66:67], v[74:75]
	v_add_f64 v[169:170], v[4:5], v[124:125]
	s_delay_alu instid0(VALU_DEP_2)
	v_fma_f64 v[126:127], v[64:65], v[72:73], -v[6:7]
	ds_load_b128 v[64:67], v186 offset:3872
	ds_load_b128 v[76:79], v186 offset:5808
	s_waitcnt lgkmcnt(1)
	v_mul_f64 v[6:7], v[64:65], v[54:55]
	v_add_f64 v[14:15], v[2:3], v[126:127]
	s_delay_alu instid0(VALU_DEP_2) | instskip(SKIP_1) | instid1(VALU_DEP_1)
	v_fma_f64 v[133:134], v[66:67], v[52:53], v[6:7]
	v_mul_f64 v[6:7], v[66:67], v[54:55]
	v_fma_f64 v[135:136], v[64:65], v[52:53], -v[6:7]
	ds_load_b128 v[64:67], v186 offset:17424
	ds_load_b128 v[159:162], v186 offset:15488
	s_clause 0x1
	global_load_b128 v[80:83], v[0:1], off offset:1792
	global_load_b128 v[68:71], v[0:1], off offset:1808
	s_waitcnt vmcnt(2) lgkmcnt(1)
	v_mul_f64 v[6:7], v[64:65], v[62:63]
	s_delay_alu instid0(VALU_DEP_1) | instskip(SKIP_1) | instid1(VALU_DEP_2)
	v_fma_f64 v[128:129], v[66:67], v[60:61], v[6:7]
	v_mul_f64 v[6:7], v[66:67], v[62:63]
	v_add_f64 v[209:210], v[133:134], -v[128:129]
	s_delay_alu instid0(VALU_DEP_2)
	v_fma_f64 v[130:131], v[64:65], v[60:61], -v[6:7]
	ds_load_b128 v[64:67], v186 offset:7744
	ds_load_b128 v[84:87], v186 offset:9680
	v_add_f64 v[215:216], v[133:134], v[128:129]
	v_mul_f64 v[24:25], v[209:210], s[18:19]
	v_add_f64 v[211:212], v[135:136], -v[130:131]
	s_delay_alu instid0(VALU_DEP_1) | instskip(SKIP_3) | instid1(VALU_DEP_1)
	v_mul_f64 v[217:218], v[211:212], s[26:27]
	v_mul_f64 v[251:252], v[211:212], s[18:19]
	s_waitcnt vmcnt(1)
	v_mul_f64 v[6:7], v[78:79], v[82:83]
	v_fma_f64 v[137:138], v[76:77], v[80:81], -v[6:7]
	v_mul_f64 v[6:7], v[76:77], v[82:83]
	s_delay_alu instid0(VALU_DEP_1) | instskip(SKIP_2) | instid1(VALU_DEP_1)
	v_fma_f64 v[139:140], v[78:79], v[80:81], v[6:7]
	s_waitcnt vmcnt(0) lgkmcnt(1)
	v_mul_f64 v[6:7], v[66:67], v[70:71]
	v_fma_f64 v[141:142], v[64:65], v[68:69], -v[6:7]
	v_mul_f64 v[6:7], v[64:65], v[70:71]
	s_delay_alu instid0(VALU_DEP_1)
	v_fma_f64 v[143:144], v[66:67], v[68:69], v[6:7]
	s_clause 0x1
	global_load_b128 v[76:79], v[0:1], off offset:1824
	global_load_b128 v[64:67], v[0:1], off offset:1840
	s_waitcnt vmcnt(1) lgkmcnt(0)
	v_mul_f64 v[6:7], v[86:87], v[78:79]
	s_delay_alu instid0(VALU_DEP_1) | instskip(SKIP_1) | instid1(VALU_DEP_1)
	v_fma_f64 v[145:146], v[84:85], v[76:77], -v[6:7]
	v_mul_f64 v[6:7], v[84:85], v[78:79]
	v_fma_f64 v[147:148], v[86:87], v[76:77], v[6:7]
	ds_load_b128 v[84:87], v186 offset:11616
	ds_load_b128 v[155:158], v186 offset:13552
	s_waitcnt vmcnt(0) lgkmcnt(1)
	v_mul_f64 v[6:7], v[86:87], v[66:67]
	s_delay_alu instid0(VALU_DEP_1) | instskip(SKIP_1) | instid1(VALU_DEP_2)
	v_fma_f64 v[149:150], v[84:85], v[64:65], -v[6:7]
	v_mul_f64 v[6:7], v[84:85], v[66:67]
	v_add_f64 v[243:244], v[145:146], v[149:150]
	s_delay_alu instid0(VALU_DEP_2)
	v_fma_f64 v[151:152], v[86:87], v[64:65], v[6:7]
	s_clause 0x1
	global_load_b128 v[84:87], v[0:1], off offset:1856
	global_load_b128 v[88:91], v[0:1], off offset:1872
	v_add_f64 v[241:242], v[147:148], -v[151:152]
	v_add_f64 v[247:248], v[147:148], v[151:152]
	s_delay_alu instid0(VALU_DEP_2) | instskip(SKIP_3) | instid1(VALU_DEP_1)
	v_mul_f64 v[245:246], v[241:242], s[22:23]
	v_mul_f64 v[38:39], v[241:242], s[18:19]
	s_waitcnt vmcnt(1) lgkmcnt(0)
	v_mul_f64 v[0:1], v[157:158], v[86:87]
	v_fma_f64 v[153:154], v[155:156], v[84:85], -v[0:1]
	v_mul_f64 v[0:1], v[155:156], v[86:87]
	s_delay_alu instid0(VALU_DEP_2) | instskip(NEXT) | instid1(VALU_DEP_2)
	v_add_f64 v[231:232], v[141:142], v[153:154]
	v_fma_f64 v[155:156], v[157:158], v[84:85], v[0:1]
	s_waitcnt vmcnt(0)
	v_mul_f64 v[0:1], v[161:162], v[90:91]
	v_add_f64 v[235:236], v[141:142], -v[153:154]
	s_delay_alu instid0(VALU_DEP_3) | instskip(NEXT) | instid1(VALU_DEP_3)
	v_add_f64 v[229:230], v[143:144], -v[155:156]
	v_fma_f64 v[157:158], v[159:160], v[88:89], -v[0:1]
	v_mul_f64 v[0:1], v[159:160], v[90:91]
	v_add_f64 v[237:238], v[143:144], v[155:156]
	v_mul_f64 v[239:240], v[235:236], s[18:19]
	v_mul_f64 v[233:234], v[229:230], s[18:19]
	v_add_f64 v[219:220], v[137:138], v[157:158]
	v_fma_f64 v[159:160], v[161:162], v[88:89], v[0:1]
	v_add_f64 v[0:1], v[4:5], -v[124:125]
	v_add_f64 v[223:224], v[137:138], -v[157:158]
	s_delay_alu instid0(VALU_DEP_3) | instskip(NEXT) | instid1(VALU_DEP_3)
	v_add_f64 v[213:214], v[139:140], -v[159:160]
	v_mul_f64 v[6:7], v[0:1], s[20:21]
	v_mul_f64 v[8:9], v[0:1], s[26:27]
	v_mul_f64 v[10:11], v[0:1], s[24:25]
	v_mul_f64 v[12:13], v[0:1], s[18:19]
	v_mul_f64 v[0:1], v[0:1], s[22:23]
	v_add_f64 v[225:226], v[139:140], v[159:160]
	v_mul_f64 v[227:228], v[223:224], s[24:25]
	v_mul_f64 v[20:21], v[223:224], s[28:29]
	;; [unrolled: 1-line block ×3, first 2 shown]
	v_fma_f64 v[16:17], v[14:15], s[16:17], -v[6:7]
	v_fma_f64 v[6:7], v[14:15], s[16:17], v[6:7]
	v_fma_f64 v[18:19], v[14:15], s[14:15], -v[8:9]
	v_fma_f64 v[8:9], v[14:15], s[14:15], v[8:9]
	;; [unrolled: 2-line block ×5, first 2 shown]
	v_add_f64 v[14:15], v[2:3], -v[126:127]
	v_add_f64 v[2:3], v[173:174], v[2:3]
	v_mul_f64 v[253:254], v[213:214], s[28:29]
	v_fma_f64 v[22:23], v[225:226], s[2:3], v[20:21]
	v_mul_f64 v[42:43], v[213:214], s[20:21]
	v_add_f64 v[28:29], v[173:174], v[181:182]
	v_add_f64 v[32:33], v[173:174], v[191:192]
	;; [unrolled: 1-line block ×3, first 2 shown]
	v_mul_f64 v[161:162], v[14:15], s[20:21]
	v_mul_f64 v[163:164], v[14:15], s[26:27]
	scratch_store_b64 off, v[2:3], off offset:184 ; 8-byte Folded Spill
	v_add_f64 v[2:3], v[175:176], v[4:5]
	v_mul_f64 v[165:166], v[14:15], s[24:25]
	v_mul_f64 v[167:168], v[14:15], s[18:19]
	;; [unrolled: 1-line block ×4, first 2 shown]
	v_fma_f64 v[171:172], v[169:170], s[16:17], v[161:162]
	v_fma_f64 v[193:194], v[169:170], s[14:15], -v[163:164]
	v_fma_f64 v[179:180], v[169:170], s[16:17], -v[161:162]
	scratch_store_b64 off, v[2:3], off offset:192 ; 8-byte Folded Spill
	v_add_f64 v[2:3], v[173:174], v[16:17]
	v_fma_f64 v[183:184], v[169:170], s[14:15], v[163:164]
	v_fma_f64 v[195:196], v[169:170], s[12:13], v[165:166]
	v_fma_f64 v[197:198], v[169:170], s[12:13], -v[165:166]
	v_fma_f64 v[199:200], v[169:170], s[8:9], v[167:168]
	v_fma_f64 v[201:202], v[169:170], s[8:9], -v[167:168]
	;; [unrolled: 2-line block ×3, first 2 shown]
	v_add_f64 v[4:5], v[175:176], v[179:180]
	v_add_f64 v[179:180], v[173:174], v[10:11]
	scratch_store_b64 off, v[2:3], off offset:200 ; 8-byte Folded Spill
	v_add_f64 v[2:3], v[175:176], v[171:172]
	v_add_f64 v[171:172], v[173:174], v[8:9]
	;; [unrolled: 1-line block ×10, first 2 shown]
	v_mul_f64 v[199:200], v[235:236], s[30:31]
	v_mul_f64 v[10:11], v[211:212], s[28:29]
	;; [unrolled: 1-line block ×4, first 2 shown]
	scratch_store_b64 off, v[2:3], off offset:208 ; 8-byte Folded Spill
	v_add_f64 v[2:3], v[173:174], v[6:7]
	scratch_store_b64 off, v[8:9], off offset:216 ; 8-byte Folded Spill
	v_add_f64 v[6:7], v[173:174], v[18:19]
	v_add_f64 v[8:9], v[173:174], v[177:178]
	;; [unrolled: 1-line block ×4, first 2 shown]
	v_mul_f64 v[175:176], v[209:210], s[26:27]
	v_fma_f64 v[12:13], v[215:216], s[2:3], v[10:11]
	s_delay_alu instid0(VALU_DEP_3) | instskip(NEXT) | instid1(VALU_DEP_3)
	v_fma_f64 v[195:196], v[173:174], s[8:9], -v[24:25]
	v_fma_f64 v[191:192], v[173:174], s[14:15], v[175:176]
	s_delay_alu instid0(VALU_DEP_3)
	v_add_f64 v[12:13], v[12:13], v[30:31]
	v_mul_f64 v[30:31], v[213:214], s[36:37]
	v_mul_f64 v[213:214], v[213:214], s[18:19]
	v_add_f64 v[6:7], v[195:196], v[6:7]
	v_add_f64 v[2:3], v[191:192], v[2:3]
	v_fma_f64 v[191:192], v[215:216], s[14:15], -v[217:218]
	v_fma_f64 v[195:196], v[215:216], s[8:9], v[251:252]
	v_fma_f64 v[14:15], v[219:220], s[14:15], -v[30:31]
	s_delay_alu instid0(VALU_DEP_3) | instskip(SKIP_1) | instid1(VALU_DEP_4)
	v_add_f64 v[4:5], v[191:192], v[4:5]
	v_fma_f64 v[191:192], v[219:220], s[12:13], v[221:222]
	v_add_f64 v[16:17], v[195:196], v[16:17]
	v_fma_f64 v[195:196], v[219:220], s[2:3], -v[253:254]
	s_delay_alu instid0(VALU_DEP_3) | instskip(SKIP_1) | instid1(VALU_DEP_4)
	v_add_f64 v[2:3], v[191:192], v[2:3]
	v_fma_f64 v[191:192], v[225:226], s[12:13], -v[227:228]
	v_add_f64 v[16:17], v[22:23], v[16:17]
	v_mul_f64 v[22:23], v[229:230], s[30:31]
	v_add_f64 v[6:7], v[195:196], v[6:7]
	s_delay_alu instid0(VALU_DEP_4) | instskip(SKIP_1) | instid1(VALU_DEP_4)
	v_add_f64 v[4:5], v[191:192], v[4:5]
	v_fma_f64 v[191:192], v[231:232], s[8:9], v[233:234]
	v_fma_f64 v[195:196], v[231:232], s[12:13], -v[22:23]
	s_delay_alu instid0(VALU_DEP_2) | instskip(SKIP_1) | instid1(VALU_DEP_3)
	v_add_f64 v[2:3], v[191:192], v[2:3]
	v_fma_f64 v[191:192], v[237:238], s[8:9], -v[239:240]
	v_add_f64 v[6:7], v[195:196], v[6:7]
	v_fma_f64 v[195:196], v[237:238], s[12:13], v[199:200]
	s_delay_alu instid0(VALU_DEP_3) | instskip(SKIP_1) | instid1(VALU_DEP_3)
	v_add_f64 v[4:5], v[191:192], v[4:5]
	v_fma_f64 v[191:192], v[243:244], s[2:3], v[245:246]
	v_add_f64 v[16:17], v[195:196], v[16:17]
	v_fma_f64 v[195:196], v[243:244], s[16:17], -v[201:202]
	s_delay_alu instid0(VALU_DEP_3) | instskip(SKIP_1) | instid1(VALU_DEP_3)
	v_add_f64 v[191:192], v[191:192], v[2:3]
	v_add_f64 v[2:3], v[145:146], -v[149:150]
	v_add_f64 v[195:196], v[195:196], v[6:7]
	v_mul_f64 v[6:7], v[223:224], s[36:37]
	s_delay_alu instid0(VALU_DEP_3) | instskip(SKIP_1) | instid1(VALU_DEP_2)
	v_mul_f64 v[18:19], v[2:3], s[34:35]
	v_mul_f64 v[249:250], v[2:3], s[22:23]
	v_fma_f64 v[197:198], v[247:248], s[16:17], v[18:19]
	s_delay_alu instid0(VALU_DEP_2) | instskip(NEXT) | instid1(VALU_DEP_2)
	v_fma_f64 v[193:194], v[247:248], s[2:3], -v[249:250]
	v_add_f64 v[197:198], v[197:198], v[16:17]
	v_fma_f64 v[16:17], v[173:174], s[2:3], -v[203:204]
	s_delay_alu instid0(VALU_DEP_3) | instskip(SKIP_1) | instid1(VALU_DEP_3)
	v_add_f64 v[193:194], v[193:194], v[4:5]
	v_mul_f64 v[4:5], v[235:236], s[20:21]
	v_add_f64 v[8:9], v[16:17], v[8:9]
	v_mul_f64 v[16:17], v[229:230], s[20:21]
	s_delay_alu instid0(VALU_DEP_2) | instskip(SKIP_2) | instid1(VALU_DEP_2)
	v_add_f64 v[8:9], v[14:15], v[8:9]
	v_fma_f64 v[14:15], v[225:226], s[14:15], v[6:7]
	v_fma_f64 v[6:7], v[225:226], s[14:15], -v[6:7]
	v_add_f64 v[12:13], v[14:15], v[12:13]
	v_fma_f64 v[14:15], v[231:232], s[16:17], -v[16:17]
	s_delay_alu instid0(VALU_DEP_1) | instskip(SKIP_2) | instid1(VALU_DEP_2)
	v_add_f64 v[8:9], v[14:15], v[8:9]
	v_fma_f64 v[14:15], v[237:238], s[16:17], v[4:5]
	v_fma_f64 v[4:5], v[237:238], s[16:17], -v[4:5]
	v_add_f64 v[12:13], v[14:15], v[12:13]
	v_fma_f64 v[14:15], v[243:244], s[8:9], -v[38:39]
	s_delay_alu instid0(VALU_DEP_1) | instskip(SKIP_1) | instid1(VALU_DEP_1)
	v_add_f64 v[161:162], v[14:15], v[8:9]
	v_mul_f64 v[8:9], v[2:3], s[18:19]
	v_fma_f64 v[14:15], v[247:248], s[8:9], v[8:9]
	s_delay_alu instid0(VALU_DEP_1) | instskip(SKIP_2) | instid1(VALU_DEP_2)
	v_add_f64 v[163:164], v[14:15], v[12:13]
	v_fma_f64 v[12:13], v[173:174], s[12:13], -v[0:1]
	v_fma_f64 v[0:1], v[173:174], s[12:13], v[0:1]
	v_add_f64 v[12:13], v[12:13], v[28:29]
	v_mul_f64 v[28:29], v[211:212], s[30:31]
	v_mul_f64 v[211:212], v[211:212], s[34:35]
	s_delay_alu instid0(VALU_DEP_4) | instskip(NEXT) | instid1(VALU_DEP_3)
	v_add_f64 v[0:1], v[0:1], v[183:184]
	v_fma_f64 v[14:15], v[215:216], s[12:13], v[28:29]
	s_delay_alu instid0(VALU_DEP_1) | instskip(SKIP_1) | instid1(VALU_DEP_1)
	v_add_f64 v[14:15], v[14:15], v[205:206]
	v_fma_f64 v[205:206], v[219:220], s[16:17], -v[42:43]
	v_add_f64 v[12:13], v[205:206], v[12:13]
	v_mul_f64 v[205:206], v[223:224], s[20:21]
	v_mul_f64 v[223:224], v[223:224], s[18:19]
	s_delay_alu instid0(VALU_DEP_2) | instskip(NEXT) | instid1(VALU_DEP_1)
	v_fma_f64 v[26:27], v[225:226], s[16:17], v[205:206]
	v_add_f64 v[14:15], v[26:27], v[14:15]
	v_mul_f64 v[26:27], v[229:230], s[22:23]
	v_mul_f64 v[229:230], v[229:230], s[36:37]
	s_delay_alu instid0(VALU_DEP_2) | instskip(SKIP_1) | instid1(VALU_DEP_2)
	v_fma_f64 v[40:41], v[231:232], s[2:3], -v[26:27]
	v_fma_f64 v[26:27], v[231:232], s[2:3], v[26:27]
	v_add_f64 v[12:13], v[40:41], v[12:13]
	v_mul_f64 v[40:41], v[235:236], s[22:23]
	v_mul_f64 v[235:236], v[235:236], s[36:37]
	s_delay_alu instid0(VALU_DEP_2) | instskip(NEXT) | instid1(VALU_DEP_1)
	v_fma_f64 v[165:166], v[237:238], s[2:3], v[40:41]
	v_add_f64 v[14:15], v[165:166], v[14:15]
	v_mul_f64 v[165:166], v[241:242], s[36:37]
	v_mul_f64 v[241:242], v[241:242], s[24:25]
	s_delay_alu instid0(VALU_DEP_2) | instskip(NEXT) | instid1(VALU_DEP_1)
	v_fma_f64 v[167:168], v[243:244], s[14:15], -v[165:166]
	v_add_f64 v[12:13], v[167:168], v[12:13]
	v_mul_f64 v[167:168], v[2:3], s[36:37]
	v_mul_f64 v[2:3], v[2:3], s[24:25]
	s_delay_alu instid0(VALU_DEP_2) | instskip(NEXT) | instid1(VALU_DEP_1)
	v_fma_f64 v[169:170], v[247:248], s[14:15], v[167:168]
	v_add_f64 v[14:15], v[169:170], v[14:15]
	v_mul_f64 v[169:170], v[209:210], s[34:35]
	s_delay_alu instid0(VALU_DEP_1) | instskip(NEXT) | instid1(VALU_DEP_1)
	v_fma_f64 v[209:210], v[173:174], s[16:17], -v[169:170]
	v_add_f64 v[32:33], v[209:210], v[32:33]
	v_fma_f64 v[209:210], v[215:216], s[16:17], v[211:212]
	s_delay_alu instid0(VALU_DEP_1) | instskip(SKIP_1) | instid1(VALU_DEP_1)
	v_add_f64 v[207:208], v[209:210], v[207:208]
	v_fma_f64 v[209:210], v[219:220], s[8:9], -v[213:214]
	v_add_f64 v[32:33], v[209:210], v[32:33]
	v_fma_f64 v[209:210], v[225:226], s[8:9], v[223:224]
	s_delay_alu instid0(VALU_DEP_1) | instskip(SKIP_1) | instid1(VALU_DEP_1)
	v_add_f64 v[207:208], v[209:210], v[207:208]
	;; [unrolled: 5-line block ×3, first 2 shown]
	v_fma_f64 v[207:208], v[243:244], s[12:13], -v[241:242]
	v_add_f64 v[207:208], v[207:208], v[32:33]
	v_fma_f64 v[32:33], v[247:248], s[12:13], v[2:3]
	v_fma_f64 v[2:3], v[247:248], s[12:13], -v[2:3]
	s_delay_alu instid0(VALU_DEP_2) | instskip(SKIP_1) | instid1(VALU_DEP_1)
	v_add_f64 v[209:210], v[32:33], v[209:210]
	v_fma_f64 v[32:33], v[173:174], s[16:17], v[169:170]
	v_add_f64 v[32:33], v[32:33], v[34:35]
	v_fma_f64 v[34:35], v[215:216], s[16:17], -v[211:212]
	s_delay_alu instid0(VALU_DEP_1) | instskip(SKIP_1) | instid1(VALU_DEP_1)
	v_add_f64 v[34:35], v[34:35], v[36:37]
	v_fma_f64 v[36:37], v[219:220], s[8:9], v[213:214]
	v_add_f64 v[32:33], v[36:37], v[32:33]
	v_fma_f64 v[36:37], v[225:226], s[8:9], -v[223:224]
	s_delay_alu instid0(VALU_DEP_1) | instskip(SKIP_1) | instid1(VALU_DEP_1)
	v_add_f64 v[34:35], v[36:37], v[34:35]
	v_fma_f64 v[36:37], v[231:232], s[14:15], v[229:230]
	v_add_f64 v[32:33], v[36:37], v[32:33]
	v_fma_f64 v[36:37], v[237:238], s[14:15], -v[235:236]
	s_delay_alu instid0(VALU_DEP_1) | instskip(SKIP_1) | instid1(VALU_DEP_2)
	v_add_f64 v[34:35], v[36:37], v[34:35]
	v_fma_f64 v[36:37], v[243:244], s[12:13], v[241:242]
	v_add_f64 v[213:214], v[2:3], v[34:35]
	v_fma_f64 v[2:3], v[215:216], s[12:13], -v[28:29]
	v_fma_f64 v[28:29], v[219:220], s[16:17], v[42:43]
	s_delay_alu instid0(VALU_DEP_4) | instskip(NEXT) | instid1(VALU_DEP_3)
	v_add_f64 v[211:212], v[36:37], v[32:33]
	v_add_f64 v[2:3], v[2:3], v[181:182]
	s_delay_alu instid0(VALU_DEP_3) | instskip(SKIP_1) | instid1(VALU_DEP_2)
	v_add_f64 v[0:1], v[28:29], v[0:1]
	v_fma_f64 v[28:29], v[225:226], s[16:17], -v[205:206]
	v_add_f64 v[0:1], v[26:27], v[0:1]
	s_delay_alu instid0(VALU_DEP_2) | instskip(SKIP_2) | instid1(VALU_DEP_2)
	v_add_f64 v[2:3], v[28:29], v[2:3]
	v_fma_f64 v[26:27], v[237:238], s[2:3], -v[40:41]
	v_fma_f64 v[28:29], v[247:248], s[14:15], -v[167:168]
	v_add_f64 v[2:3], v[26:27], v[2:3]
	v_fma_f64 v[26:27], v[243:244], s[14:15], v[165:166]
	s_delay_alu instid0(VALU_DEP_2) | instskip(NEXT) | instid1(VALU_DEP_2)
	v_add_f64 v[183:184], v[28:29], v[2:3]
	v_add_f64 v[181:182], v[26:27], v[0:1]
	v_fma_f64 v[0:1], v[173:174], s[2:3], v[203:204]
	v_fma_f64 v[2:3], v[215:216], s[2:3], -v[10:11]
	v_fma_f64 v[10:11], v[219:220], s[14:15], v[30:31]
	s_delay_alu instid0(VALU_DEP_3) | instskip(NEXT) | instid1(VALU_DEP_3)
	v_add_f64 v[0:1], v[0:1], v[179:180]
	v_add_f64 v[2:3], v[2:3], v[177:178]
	s_delay_alu instid0(VALU_DEP_2) | instskip(NEXT) | instid1(VALU_DEP_2)
	v_add_f64 v[0:1], v[10:11], v[0:1]
	v_add_f64 v[2:3], v[6:7], v[2:3]
	v_fma_f64 v[6:7], v[231:232], s[16:17], v[16:17]
	v_fma_f64 v[10:11], v[237:238], s[8:9], v[239:240]
	s_delay_alu instid0(VALU_DEP_3) | instskip(NEXT) | instid1(VALU_DEP_3)
	v_add_f64 v[2:3], v[4:5], v[2:3]
	v_add_f64 v[0:1], v[6:7], v[0:1]
	v_fma_f64 v[4:5], v[243:244], s[8:9], v[38:39]
	v_fma_f64 v[6:7], v[247:248], s[8:9], -v[8:9]
	scratch_load_b64 v[8:9], off, off offset:200 ; 8-byte Folded Reload
	v_add_f64 v[177:178], v[4:5], v[0:1]
	scratch_load_b64 v[4:5], off, off offset:216 ; 8-byte Folded Reload
	v_add_f64 v[179:180], v[6:7], v[2:3]
	v_fma_f64 v[0:1], v[173:174], s[8:9], v[24:25]
	v_fma_f64 v[2:3], v[215:216], s[8:9], -v[251:252]
	v_fma_f64 v[6:7], v[247:248], s[16:17], -v[18:19]
	s_delay_alu instid0(VALU_DEP_3) | instskip(SKIP_1) | instid1(VALU_DEP_3)
	v_add_f64 v[0:1], v[0:1], v[171:172]
	s_waitcnt vmcnt(0)
	v_add_f64 v[2:3], v[2:3], v[4:5]
	v_fma_f64 v[4:5], v[219:220], s[2:3], v[253:254]
	s_delay_alu instid0(VALU_DEP_1) | instskip(SKIP_1) | instid1(VALU_DEP_1)
	v_add_f64 v[0:1], v[4:5], v[0:1]
	v_fma_f64 v[4:5], v[225:226], s[2:3], -v[20:21]
	v_add_f64 v[2:3], v[4:5], v[2:3]
	v_fma_f64 v[4:5], v[231:232], s[12:13], v[22:23]
	s_delay_alu instid0(VALU_DEP_1) | instskip(SKIP_1) | instid1(VALU_DEP_1)
	v_add_f64 v[0:1], v[4:5], v[0:1]
	v_fma_f64 v[4:5], v[237:238], s[12:13], -v[199:200]
	v_add_f64 v[2:3], v[4:5], v[2:3]
	v_fma_f64 v[4:5], v[243:244], s[16:17], v[201:202]
	s_delay_alu instid0(VALU_DEP_2) | instskip(NEXT) | instid1(VALU_DEP_2)
	v_add_f64 v[171:172], v[6:7], v[2:3]
	v_add_f64 v[169:170], v[4:5], v[0:1]
	v_fma_f64 v[0:1], v[173:174], s[14:15], -v[175:176]
	v_fma_f64 v[2:3], v[215:216], s[14:15], v[217:218]
	v_fma_f64 v[4:5], v[219:220], s[12:13], -v[221:222]
	v_fma_f64 v[6:7], v[225:226], s[12:13], v[227:228]
	s_delay_alu instid0(VALU_DEP_4)
	v_add_f64 v[0:1], v[0:1], v[8:9]
	scratch_load_b64 v[8:9], off, off offset:208 ; 8-byte Folded Reload
	v_add_f64 v[0:1], v[4:5], v[0:1]
	v_fma_f64 v[4:5], v[243:244], s[2:3], -v[245:246]
	s_waitcnt vmcnt(0)
	v_add_f64 v[2:3], v[2:3], v[8:9]
	v_fma_f64 v[8:9], v[231:232], s[8:9], -v[233:234]
	s_delay_alu instid0(VALU_DEP_2) | instskip(SKIP_1) | instid1(VALU_DEP_3)
	v_add_f64 v[2:3], v[6:7], v[2:3]
	v_fma_f64 v[6:7], v[247:248], s[2:3], v[249:250]
	v_add_f64 v[0:1], v[8:9], v[0:1]
	s_delay_alu instid0(VALU_DEP_3) | instskip(NEXT) | instid1(VALU_DEP_2)
	v_add_f64 v[2:3], v[10:11], v[2:3]
	v_add_f64 v[165:166], v[4:5], v[0:1]
	scratch_load_b64 v[0:1], off, off offset:184 ; 8-byte Folded Reload
	v_add_f64 v[167:168], v[6:7], v[2:3]
	scratch_load_b64 v[2:3], off, off offset:192 ; 8-byte Folded Reload
	s_waitcnt vmcnt(1)
	v_add_f64 v[0:1], v[0:1], v[135:136]
	s_waitcnt vmcnt(0)
	v_add_f64 v[2:3], v[2:3], v[133:134]
	s_delay_alu instid0(VALU_DEP_2) | instskip(NEXT) | instid1(VALU_DEP_2)
	v_add_f64 v[0:1], v[0:1], v[137:138]
	v_add_f64 v[2:3], v[2:3], v[139:140]
	s_delay_alu instid0(VALU_DEP_2) | instskip(NEXT) | instid1(VALU_DEP_2)
	v_add_f64 v[0:1], v[0:1], v[141:142]
	;; [unrolled: 3-line block ×7, first 2 shown]
	v_add_f64 v[2:3], v[2:3], v[128:129]
	s_delay_alu instid0(VALU_DEP_2) | instskip(SKIP_2) | instid1(VALU_DEP_4)
	v_add_f64 v[126:127], v[0:1], v[126:127]
	v_add_co_u32 v0, vcc_lo, 0x5000, v187
	v_add_co_ci_u32_e32 v1, vcc_lo, 0, v188, vcc_lo
	v_add_f64 v[128:129], v[2:3], v[124:125]
	v_add_co_u32 v2, vcc_lo, 0x6000, v187
	v_add_co_ci_u32_e32 v3, vcc_lo, 0, v188, vcc_lo
	ds_store_b128 v186, v[195:198] offset:3872
	ds_store_b128 v186, v[161:164] offset:5808
	;; [unrolled: 1-line block ×10, first 2 shown]
	ds_store_b128 v186, v[126:129]
	s_waitcnt lgkmcnt(0)
	s_waitcnt_vscnt null, 0x0
	s_barrier
	buffer_gl0_inv
	s_clause 0x1
	global_load_b128 v[124:127], v[0:1], off offset:816
	global_load_b128 v[128:131], v[2:3], off offset:2528
	ds_load_b128 v[133:136], v186
	ds_load_b128 v[137:140], v186 offset:1936
	s_waitcnt vmcnt(1) lgkmcnt(1)
	v_mul_f64 v[0:1], v[135:136], v[126:127]
	v_mul_f64 v[2:3], v[133:134], v[126:127]
	s_delay_alu instid0(VALU_DEP_2) | instskip(SKIP_2) | instid1(VALU_DEP_4)
	v_fma_f64 v[133:134], v[133:134], v[124:125], -v[0:1]
	v_add_co_u32 v0, vcc_lo, 0x5330, v187
	v_add_co_ci_u32_e32 v1, vcc_lo, 0, v188, vcc_lo
	v_fma_f64 v[135:136], v[135:136], v[124:125], v[2:3]
	s_clause 0x1
	global_load_b128 v[124:127], v[0:1], off offset:1936
	global_load_b128 v[141:144], v[0:1], off offset:3872
	s_waitcnt vmcnt(1) lgkmcnt(0)
	v_mul_f64 v[0:1], v[139:140], v[126:127]
	v_mul_f64 v[2:3], v[137:138], v[126:127]
	s_delay_alu instid0(VALU_DEP_2) | instskip(NEXT) | instid1(VALU_DEP_2)
	v_fma_f64 v[137:138], v[137:138], v[124:125], -v[0:1]
	v_fma_f64 v[139:140], v[139:140], v[124:125], v[2:3]
	ds_load_b128 v[124:127], v186 offset:3872
	ds_load_b128 v[145:148], v186 offset:5808
	s_waitcnt vmcnt(0) lgkmcnt(1)
	v_mul_f64 v[0:1], v[126:127], v[143:144]
	v_mul_f64 v[2:3], v[124:125], v[143:144]
	s_delay_alu instid0(VALU_DEP_2) | instskip(SKIP_2) | instid1(VALU_DEP_3)
	v_fma_f64 v[124:125], v[124:125], v[141:142], -v[0:1]
	s_waitcnt lgkmcnt(0)
	v_mul_f64 v[0:1], v[147:148], v[130:131]
	v_fma_f64 v[126:127], v[126:127], v[141:142], v[2:3]
	v_mul_f64 v[2:3], v[145:146], v[130:131]
	s_delay_alu instid0(VALU_DEP_3) | instskip(SKIP_2) | instid1(VALU_DEP_4)
	v_fma_f64 v[141:142], v[145:146], v[128:129], -v[0:1]
	v_add_co_u32 v0, vcc_lo, 0x7000, v187
	v_add_co_ci_u32_e32 v1, vcc_lo, 0, v188, vcc_lo
	v_fma_f64 v[143:144], v[147:148], v[128:129], v[2:3]
	s_clause 0x1
	global_load_b128 v[128:131], v[0:1], off offset:368
	global_load_b128 v[145:148], v[0:1], off offset:2304
	ds_load_b128 v[149:152], v186 offset:7744
	ds_load_b128 v[153:156], v186 offset:9680
	s_waitcnt vmcnt(1) lgkmcnt(1)
	v_mul_f64 v[0:1], v[151:152], v[130:131]
	v_mul_f64 v[2:3], v[149:150], v[130:131]
	s_delay_alu instid0(VALU_DEP_2) | instskip(SKIP_2) | instid1(VALU_DEP_3)
	v_fma_f64 v[149:150], v[149:150], v[128:129], -v[0:1]
	s_waitcnt vmcnt(0) lgkmcnt(0)
	v_mul_f64 v[0:1], v[155:156], v[147:148]
	v_fma_f64 v[151:152], v[151:152], v[128:129], v[2:3]
	v_mul_f64 v[2:3], v[153:154], v[147:148]
	s_delay_alu instid0(VALU_DEP_3) | instskip(SKIP_2) | instid1(VALU_DEP_4)
	v_fma_f64 v[128:129], v[153:154], v[145:146], -v[0:1]
	v_add_co_u32 v0, vcc_lo, 0x8000, v187
	v_add_co_ci_u32_e32 v1, vcc_lo, 0, v188, vcc_lo
	v_fma_f64 v[130:131], v[155:156], v[145:146], v[2:3]
	s_clause 0x1
	global_load_b128 v[145:148], v[0:1], off offset:144
	global_load_b128 v[153:156], v[0:1], off offset:2080
	ds_load_b128 v[157:160], v186 offset:11616
	ds_load_b128 v[161:164], v186 offset:13552
	s_waitcnt vmcnt(1) lgkmcnt(1)
	v_mul_f64 v[2:3], v[159:160], v[147:148]
	v_mul_f64 v[4:5], v[157:158], v[147:148]
	s_delay_alu instid0(VALU_DEP_2) | instskip(SKIP_2) | instid1(VALU_DEP_3)
	v_fma_f64 v[157:158], v[157:158], v[145:146], -v[2:3]
	s_waitcnt vmcnt(0) lgkmcnt(0)
	v_mul_f64 v[2:3], v[163:164], v[155:156]
	v_fma_f64 v[159:160], v[159:160], v[145:146], v[4:5]
	v_mul_f64 v[4:5], v[161:162], v[155:156]
	s_delay_alu instid0(VALU_DEP_3) | instskip(SKIP_2) | instid1(VALU_DEP_4)
	v_fma_f64 v[145:146], v[161:162], v[153:154], -v[2:3]
	v_add_co_u32 v2, vcc_lo, 0x9000, v187
	v_add_co_ci_u32_e32 v3, vcc_lo, 0, v188, vcc_lo
	v_fma_f64 v[147:148], v[163:164], v[153:154], v[4:5]
	s_clause 0x1
	global_load_b128 v[153:156], v[0:1], off offset:4016
	global_load_b128 v[161:164], v[2:3], off offset:1856
	ds_load_b128 v[165:168], v186 offset:15488
	ds_load_b128 v[169:172], v186 offset:17424
	s_waitcnt vmcnt(1) lgkmcnt(1)
	v_mul_f64 v[0:1], v[167:168], v[155:156]
	v_mul_f64 v[4:5], v[165:166], v[155:156]
	s_delay_alu instid0(VALU_DEP_2) | instskip(NEXT) | instid1(VALU_DEP_2)
	v_fma_f64 v[165:166], v[165:166], v[153:154], -v[0:1]
	v_fma_f64 v[167:168], v[167:168], v[153:154], v[4:5]
	s_waitcnt vmcnt(0) lgkmcnt(0)
	v_mul_f64 v[0:1], v[171:172], v[163:164]
	v_mul_f64 v[4:5], v[169:170], v[163:164]
	s_delay_alu instid0(VALU_DEP_2) | instskip(NEXT) | instid1(VALU_DEP_2)
	v_fma_f64 v[153:154], v[169:170], v[161:162], -v[0:1]
	v_fma_f64 v[155:156], v[171:172], v[161:162], v[4:5]
	global_load_b128 v[161:164], v[2:3], off offset:3792
	ds_load_b128 v[169:172], v186 offset:19360
	s_waitcnt vmcnt(0) lgkmcnt(0)
	v_mul_f64 v[0:1], v[171:172], v[163:164]
	v_mul_f64 v[2:3], v[169:170], v[163:164]
	s_delay_alu instid0(VALU_DEP_2) | instskip(NEXT) | instid1(VALU_DEP_2)
	v_fma_f64 v[169:170], v[169:170], v[161:162], -v[0:1]
	v_fma_f64 v[171:172], v[171:172], v[161:162], v[2:3]
	ds_store_b128 v186, v[133:136]
	ds_store_b128 v186, v[137:140] offset:1936
	ds_store_b128 v186, v[124:127] offset:3872
	;; [unrolled: 1-line block ×10, first 2 shown]
	s_waitcnt lgkmcnt(0)
	s_barrier
	buffer_gl0_inv
	ds_load_b128 v[124:127], v186
	ds_load_b128 v[128:131], v186 offset:1936
	ds_load_b128 v[147:150], v186 offset:3872
	;; [unrolled: 1-line block ×7, first 2 shown]
	s_waitcnt lgkmcnt(6)
	v_add_f64 v[0:1], v[124:125], v[128:129]
	v_add_f64 v[2:3], v[126:127], v[130:131]
	s_waitcnt lgkmcnt(1)
	v_add_f64 v[133:134], v[135:136], v[151:152]
	v_add_f64 v[4:5], v[137:138], v[153:154]
	v_add_f64 v[6:7], v[137:138], -v[153:154]
	s_waitcnt lgkmcnt(0)
	v_add_f64 v[8:9], v[141:142], v[157:158]
	v_add_f64 v[10:11], v[141:142], -v[157:158]
	v_add_f64 v[0:1], v[0:1], v[147:148]
	v_add_f64 v[2:3], v[2:3], v[149:150]
	v_mul_f64 v[197:198], v[6:7], s[22:23]
	v_mul_f64 v[195:196], v[8:9], s[8:9]
	;; [unrolled: 1-line block ×15, first 2 shown]
	v_add_f64 v[0:1], v[0:1], v[143:144]
	v_add_f64 v[2:3], v[2:3], v[145:146]
	s_delay_alu instid0(VALU_DEP_2) | instskip(NEXT) | instid1(VALU_DEP_2)
	v_add_f64 v[0:1], v[0:1], v[139:140]
	v_add_f64 v[2:3], v[2:3], v[141:142]
	s_delay_alu instid0(VALU_DEP_2) | instskip(NEXT) | instid1(VALU_DEP_2)
	v_add_f64 v[0:1], v[0:1], v[135:136]
	v_add_f64 v[2:3], v[2:3], v[137:138]
	v_add_f64 v[135:136], v[135:136], -v[151:152]
	v_add_f64 v[137:138], v[139:140], v[155:156]
	v_add_f64 v[139:140], v[139:140], -v[155:156]
	v_add_f64 v[0:1], v[0:1], v[151:152]
	v_add_f64 v[2:3], v[2:3], v[153:154]
	s_delay_alu instid0(VALU_DEP_2) | instskip(NEXT) | instid1(VALU_DEP_2)
	v_add_f64 v[0:1], v[0:1], v[155:156]
	v_add_f64 v[2:3], v[2:3], v[157:158]
	ds_load_b128 v[151:154], v186 offset:15488
	ds_load_b128 v[155:158], v186 offset:17424
	s_waitcnt lgkmcnt(1)
	v_add_f64 v[141:142], v[143:144], v[151:152]
	v_add_f64 v[143:144], v[143:144], -v[151:152]
	s_waitcnt lgkmcnt(0)
	v_add_f64 v[16:17], v[149:150], -v[157:158]
	v_add_f64 v[18:19], v[149:150], v[157:158]
	v_add_f64 v[12:13], v[145:146], v[153:154]
	v_add_f64 v[14:15], v[145:146], -v[153:154]
	v_add_f64 v[145:146], v[147:148], v[155:156]
	v_add_f64 v[147:148], v[147:148], -v[155:156]
	v_add_f64 v[0:1], v[0:1], v[151:152]
	v_add_f64 v[2:3], v[2:3], v[153:154]
	ds_load_b128 v[149:152], v186 offset:19360
	s_waitcnt lgkmcnt(0)
	s_barrier
	buffer_gl0_inv
	v_add_f64 v[20:21], v[130:131], -v[151:152]
	v_add_f64 v[22:23], v[130:131], v[151:152]
	v_add_f64 v[24:25], v[128:129], v[149:150]
	v_add_f64 v[26:27], v[128:129], -v[149:150]
	v_mul_f64 v[181:182], v[16:17], s[26:27]
	v_mul_f64 v[183:184], v[18:19], s[14:15]
	;; [unrolled: 1-line block ×12, first 2 shown]
	v_add_f64 v[0:1], v[0:1], v[155:156]
	v_add_f64 v[2:3], v[2:3], v[157:158]
	v_mul_f64 v[219:220], v[18:19], s[12:13]
	v_mul_f64 v[221:222], v[14:15], s[20:21]
	;; [unrolled: 1-line block ×9, first 2 shown]
	v_add_f64 v[128:129], v[0:1], v[149:150]
	v_add_f64 v[130:131], v[2:3], v[151:152]
	v_mul_f64 v[0:1], v[20:21], s[20:21]
	v_mul_f64 v[2:3], v[20:21], s[26:27]
	;; [unrolled: 1-line block ×5, first 2 shown]
	v_fma_f64 v[36:37], v[24:25], s[12:13], v[28:29]
	v_fma_f64 v[28:29], v[24:25], s[12:13], -v[28:29]
	v_fma_f64 v[38:39], v[24:25], s[8:9], v[30:31]
	v_fma_f64 v[30:31], v[24:25], s[8:9], -v[30:31]
	v_fma_f64 v[155:156], v[26:27], s[36:37], v[42:43]
	v_fma_f64 v[42:43], v[26:27], s[26:27], v[42:43]
	;; [unrolled: 1-line block ×3, first 2 shown]
	v_fma_f64 v[0:1], v[24:25], s[16:17], -v[0:1]
	v_fma_f64 v[34:35], v[24:25], s[14:15], v[2:3]
	v_fma_f64 v[2:3], v[24:25], s[14:15], -v[2:3]
	v_fma_f64 v[40:41], v[24:25], s[2:3], v[20:21]
	v_fma_f64 v[20:21], v[24:25], s[2:3], -v[20:21]
	v_mul_f64 v[24:25], v[22:23], s[16:17]
	v_mul_f64 v[22:23], v[22:23], s[2:3]
	v_fma_f64 v[157:158], v[26:27], s[30:31], v[149:150]
	v_fma_f64 v[149:150], v[26:27], s[24:25], v[149:150]
	;; [unrolled: 1-line block ×4, first 2 shown]
	v_add_f64 v[36:37], v[124:125], v[36:37]
	v_add_f64 v[28:29], v[124:125], v[28:29]
	;; [unrolled: 1-line block ×10, first 2 shown]
	v_fma_f64 v[153:154], v[26:27], s[34:35], v[24:25]
	v_fma_f64 v[24:25], v[26:27], s[20:21], v[24:25]
	v_fma_f64 v[161:162], v[26:27], s[28:29], v[22:23]
	v_fma_f64 v[22:23], v[26:27], s[22:23], v[22:23]
	v_add_f64 v[26:27], v[124:125], v[32:33]
	v_fma_f64 v[124:125], v[145:146], s[14:15], -v[181:182]
	v_add_f64 v[173:174], v[126:127], v[149:150]
	v_add_f64 v[169:170], v[126:127], v[151:152]
	v_fma_f64 v[151:152], v[141:142], s[2:3], v[179:180]
	v_add_f64 v[32:33], v[126:127], v[153:154]
	v_add_f64 v[24:25], v[126:127], v[24:25]
	;; [unrolled: 1-line block ×6, first 2 shown]
	v_fma_f64 v[124:125], v[147:148], s[26:27], v[183:184]
	v_add_f64 v[161:162], v[126:127], v[161:162]
	v_add_f64 v[22:23], v[126:127], v[22:23]
	s_delay_alu instid0(VALU_DEP_3) | instskip(SKIP_1) | instid1(VALU_DEP_1)
	v_add_f64 v[24:25], v[124:125], v[24:25]
	v_fma_f64 v[124:125], v[141:142], s[12:13], -v[187:188]
	v_add_f64 v[0:1], v[124:125], v[0:1]
	v_fma_f64 v[124:125], v[143:144], s[24:25], v[191:192]
	s_delay_alu instid0(VALU_DEP_1) | instskip(SKIP_1) | instid1(VALU_DEP_1)
	v_add_f64 v[24:25], v[124:125], v[24:25]
	v_fma_f64 v[124:125], v[137:138], s[8:9], -v[193:194]
	v_add_f64 v[0:1], v[124:125], v[0:1]
	v_fma_f64 v[124:125], v[139:140], s[18:19], v[195:196]
	s_delay_alu instid0(VALU_DEP_1) | instskip(SKIP_1) | instid1(VALU_DEP_1)
	v_add_f64 v[24:25], v[124:125], v[24:25]
	v_fma_f64 v[124:125], v[133:134], s[2:3], -v[197:198]
	v_add_f64 v[124:125], v[124:125], v[0:1]
	v_mul_f64 v[0:1], v[4:5], s[2:3]
	s_delay_alu instid0(VALU_DEP_1) | instskip(SKIP_1) | instid1(VALU_DEP_2)
	v_fma_f64 v[126:127], v[135:136], s[22:23], v[0:1]
	v_fma_f64 v[0:1], v[135:136], s[28:29], v[0:1]
	v_add_f64 v[126:127], v[126:127], v[24:25]
	v_mul_f64 v[24:25], v[16:17], s[18:19]
	v_mul_f64 v[16:17], v[16:17], s[34:35]
	s_delay_alu instid0(VALU_DEP_2) | instskip(NEXT) | instid1(VALU_DEP_1)
	v_fma_f64 v[149:150], v[145:146], s[8:9], v[24:25]
	v_add_f64 v[34:35], v[149:150], v[34:35]
	v_fma_f64 v[149:150], v[147:148], s[10:11], v[177:178]
	s_delay_alu instid0(VALU_DEP_2) | instskip(NEXT) | instid1(VALU_DEP_2)
	v_add_f64 v[34:35], v[151:152], v[34:35]
	v_add_f64 v[149:150], v[149:150], v[153:154]
	v_fma_f64 v[151:152], v[143:144], s[22:23], v[199:200]
	s_delay_alu instid0(VALU_DEP_1) | instskip(SKIP_1) | instid1(VALU_DEP_1)
	v_add_f64 v[149:150], v[151:152], v[149:150]
	v_fma_f64 v[151:152], v[137:138], s[12:13], v[201:202]
	v_add_f64 v[34:35], v[151:152], v[34:35]
	v_fma_f64 v[151:152], v[139:140], s[24:25], v[203:204]
	s_delay_alu instid0(VALU_DEP_1) | instskip(SKIP_1) | instid1(VALU_DEP_1)
	v_add_f64 v[151:152], v[151:152], v[149:150]
	v_fma_f64 v[149:150], v[133:134], s[16:17], v[205:206]
	v_add_f64 v[149:150], v[149:150], v[34:35]
	v_mul_f64 v[34:35], v[4:5], s[16:17]
	s_delay_alu instid0(VALU_DEP_1) | instskip(NEXT) | instid1(VALU_DEP_1)
	v_fma_f64 v[153:154], v[135:136], s[20:21], v[34:35]
	v_add_f64 v[151:152], v[153:154], v[151:152]
	v_fma_f64 v[153:154], v[145:146], s[2:3], v[175:176]
	s_delay_alu instid0(VALU_DEP_1) | instskip(SKIP_1) | instid1(VALU_DEP_1)
	v_add_f64 v[36:37], v[153:154], v[36:37]
	v_fma_f64 v[153:154], v[147:148], s[22:23], v[207:208]
	v_add_f64 v[153:154], v[153:154], v[155:156]
	v_fma_f64 v[155:156], v[141:142], s[14:15], v[209:210]
	s_delay_alu instid0(VALU_DEP_1) | instskip(SKIP_1) | instid1(VALU_DEP_1)
	v_add_f64 v[36:37], v[155:156], v[36:37]
	;; [unrolled: 5-line block ×4, first 2 shown]
	v_mul_f64 v[36:37], v[4:5], s[8:9]
	v_fma_f64 v[159:160], v[135:136], s[10:11], v[36:37]
	s_delay_alu instid0(VALU_DEP_1) | instskip(SKIP_1) | instid1(VALU_DEP_1)
	v_add_f64 v[155:156], v[159:160], v[155:156]
	v_fma_f64 v[159:160], v[145:146], s[12:13], v[171:172]
	v_add_f64 v[38:39], v[159:160], v[38:39]
	v_fma_f64 v[159:160], v[147:148], s[24:25], v[219:220]
	s_delay_alu instid0(VALU_DEP_1) | instskip(SKIP_1) | instid1(VALU_DEP_1)
	v_add_f64 v[157:158], v[159:160], v[157:158]
	v_fma_f64 v[159:160], v[141:142], s[16:17], v[221:222]
	v_add_f64 v[38:39], v[159:160], v[38:39]
	;; [unrolled: 5-line block ×4, first 2 shown]
	v_mul_f64 v[38:39], v[4:5], s[14:15]
	v_mul_f64 v[4:5], v[4:5], s[12:13]
	s_delay_alu instid0(VALU_DEP_2) | instskip(NEXT) | instid1(VALU_DEP_1)
	v_fma_f64 v[163:164], v[135:136], s[26:27], v[38:39]
	v_add_f64 v[159:160], v[163:164], v[159:160]
	v_fma_f64 v[163:164], v[145:146], s[16:17], v[16:17]
	v_fma_f64 v[16:17], v[145:146], s[16:17], -v[16:17]
	s_delay_alu instid0(VALU_DEP_2) | instskip(SKIP_2) | instid1(VALU_DEP_4)
	v_add_f64 v[40:41], v[163:164], v[40:41]
	v_fma_f64 v[163:164], v[147:148], s[20:21], v[18:19]
	v_fma_f64 v[18:19], v[147:148], s[34:35], v[18:19]
	v_add_f64 v[16:17], v[16:17], v[20:21]
	s_delay_alu instid0(VALU_DEP_3) | instskip(SKIP_1) | instid1(VALU_DEP_4)
	v_add_f64 v[161:162], v[163:164], v[161:162]
	v_fma_f64 v[163:164], v[141:142], s[8:9], v[14:15]
	v_add_f64 v[18:19], v[18:19], v[22:23]
	v_fma_f64 v[14:15], v[141:142], s[8:9], -v[14:15]
	s_delay_alu instid0(VALU_DEP_3) | instskip(SKIP_2) | instid1(VALU_DEP_4)
	v_add_f64 v[40:41], v[163:164], v[40:41]
	v_fma_f64 v[163:164], v[143:144], s[10:11], v[12:13]
	v_fma_f64 v[12:13], v[143:144], s[18:19], v[12:13]
	v_add_f64 v[14:15], v[14:15], v[16:17]
	s_delay_alu instid0(VALU_DEP_3) | instskip(SKIP_1) | instid1(VALU_DEP_4)
	v_add_f64 v[161:162], v[163:164], v[161:162]
	v_fma_f64 v[163:164], v[137:138], s[14:15], v[10:11]
	v_add_f64 v[12:13], v[12:13], v[18:19]
	v_fma_f64 v[10:11], v[137:138], s[14:15], -v[10:11]
	s_delay_alu instid0(VALU_DEP_3) | instskip(SKIP_2) | instid1(VALU_DEP_4)
	v_add_f64 v[40:41], v[163:164], v[40:41]
	v_fma_f64 v[163:164], v[139:140], s[26:27], v[8:9]
	v_fma_f64 v[8:9], v[139:140], s[36:37], v[8:9]
	v_add_f64 v[10:11], v[10:11], v[14:15]
	s_delay_alu instid0(VALU_DEP_3) | instskip(SKIP_1) | instid1(VALU_DEP_4)
	v_add_f64 v[163:164], v[163:164], v[161:162]
	v_fma_f64 v[161:162], v[133:134], s[12:13], v[6:7]
	v_add_f64 v[8:9], v[8:9], v[12:13]
	v_fma_f64 v[6:7], v[133:134], s[12:13], -v[6:7]
	v_fma_f64 v[12:13], v[139:140], s[10:11], v[195:196]
	s_delay_alu instid0(VALU_DEP_4)
	v_add_f64 v[161:162], v[161:162], v[40:41]
	v_fma_f64 v[40:41], v[135:136], s[30:31], v[4:5]
	v_fma_f64 v[4:5], v[135:136], s[24:25], v[4:5]
	v_add_f64 v[165:166], v[6:7], v[10:11]
	v_fma_f64 v[6:7], v[147:148], s[30:31], v[219:220]
	v_fma_f64 v[10:11], v[135:136], s[36:37], v[38:39]
	v_add_f64 v[163:164], v[40:41], v[163:164]
	v_add_f64 v[167:168], v[4:5], v[8:9]
	v_fma_f64 v[4:5], v[145:146], s[12:13], -v[171:172]
	v_fma_f64 v[8:9], v[141:142], s[16:17], -v[221:222]
	v_add_f64 v[6:7], v[6:7], v[169:170]
	s_delay_alu instid0(VALU_DEP_3) | instskip(NEXT) | instid1(VALU_DEP_1)
	v_add_f64 v[4:5], v[4:5], v[30:31]
	v_add_f64 v[4:5], v[8:9], v[4:5]
	v_fma_f64 v[8:9], v[143:144], s[20:21], v[223:224]
	s_delay_alu instid0(VALU_DEP_1) | instskip(SKIP_1) | instid1(VALU_DEP_1)
	v_add_f64 v[6:7], v[8:9], v[6:7]
	v_fma_f64 v[8:9], v[137:138], s[2:3], -v[225:226]
	v_add_f64 v[4:5], v[8:9], v[4:5]
	v_fma_f64 v[8:9], v[139:140], s[22:23], v[227:228]
	s_delay_alu instid0(VALU_DEP_1) | instskip(SKIP_1) | instid1(VALU_DEP_2)
	v_add_f64 v[6:7], v[8:9], v[6:7]
	v_fma_f64 v[8:9], v[133:134], s[14:15], -v[229:230]
	v_add_f64 v[171:172], v[10:11], v[6:7]
	s_delay_alu instid0(VALU_DEP_2) | instskip(SKIP_4) | instid1(VALU_DEP_4)
	v_add_f64 v[169:170], v[8:9], v[4:5]
	v_fma_f64 v[4:5], v[145:146], s[2:3], -v[175:176]
	v_fma_f64 v[6:7], v[147:148], s[28:29], v[207:208]
	v_fma_f64 v[8:9], v[141:142], s[14:15], -v[209:210]
	v_fma_f64 v[10:11], v[135:136], s[18:19], v[36:37]
	v_add_f64 v[4:5], v[4:5], v[28:29]
	s_delay_alu instid0(VALU_DEP_4) | instskip(NEXT) | instid1(VALU_DEP_2)
	v_add_f64 v[6:7], v[6:7], v[173:174]
	v_add_f64 v[4:5], v[8:9], v[4:5]
	v_fma_f64 v[8:9], v[143:144], s[36:37], v[211:212]
	s_delay_alu instid0(VALU_DEP_1) | instskip(SKIP_1) | instid1(VALU_DEP_1)
	v_add_f64 v[6:7], v[8:9], v[6:7]
	v_fma_f64 v[8:9], v[137:138], s[16:17], -v[213:214]
	v_add_f64 v[4:5], v[8:9], v[4:5]
	v_fma_f64 v[8:9], v[139:140], s[20:21], v[215:216]
	s_delay_alu instid0(VALU_DEP_1) | instskip(SKIP_1) | instid1(VALU_DEP_2)
	v_add_f64 v[6:7], v[8:9], v[6:7]
	v_fma_f64 v[8:9], v[133:134], s[8:9], -v[217:218]
	v_add_f64 v[175:176], v[10:11], v[6:7]
	s_delay_alu instid0(VALU_DEP_2) | instskip(SKIP_4) | instid1(VALU_DEP_4)
	v_add_f64 v[173:174], v[8:9], v[4:5]
	v_fma_f64 v[4:5], v[145:146], s[8:9], -v[24:25]
	v_fma_f64 v[6:7], v[141:142], s[2:3], -v[179:180]
	v_fma_f64 v[8:9], v[135:136], s[34:35], v[34:35]
	v_fma_f64 v[10:11], v[137:138], s[8:9], v[193:194]
	v_add_f64 v[2:3], v[4:5], v[2:3]
	v_fma_f64 v[4:5], v[147:148], s[18:19], v[177:178]
	s_delay_alu instid0(VALU_DEP_2) | instskip(NEXT) | instid1(VALU_DEP_2)
	v_add_f64 v[2:3], v[6:7], v[2:3]
	v_add_f64 v[4:5], v[4:5], v[42:43]
	v_fma_f64 v[6:7], v[143:144], s[28:29], v[199:200]
	s_delay_alu instid0(VALU_DEP_1) | instskip(SKIP_1) | instid1(VALU_DEP_1)
	v_add_f64 v[4:5], v[6:7], v[4:5]
	v_fma_f64 v[6:7], v[137:138], s[12:13], -v[201:202]
	v_add_f64 v[2:3], v[6:7], v[2:3]
	v_fma_f64 v[6:7], v[139:140], s[30:31], v[203:204]
	s_delay_alu instid0(VALU_DEP_1) | instskip(SKIP_1) | instid1(VALU_DEP_2)
	v_add_f64 v[4:5], v[6:7], v[4:5]
	v_fma_f64 v[6:7], v[133:134], s[16:17], -v[205:206]
	v_add_f64 v[179:180], v[8:9], v[4:5]
	s_delay_alu instid0(VALU_DEP_2) | instskip(SKIP_4) | instid1(VALU_DEP_4)
	v_add_f64 v[177:178], v[6:7], v[2:3]
	v_fma_f64 v[2:3], v[145:146], s[14:15], v[181:182]
	v_fma_f64 v[4:5], v[147:148], s[36:37], v[183:184]
	;; [unrolled: 1-line block ×4, first 2 shown]
	v_add_f64 v[2:3], v[2:3], v[26:27]
	s_delay_alu instid0(VALU_DEP_4) | instskip(NEXT) | instid1(VALU_DEP_2)
	v_add_f64 v[4:5], v[4:5], v[32:33]
	v_add_f64 v[2:3], v[6:7], v[2:3]
	s_delay_alu instid0(VALU_DEP_2) | instskip(SKIP_1) | instid1(VALU_DEP_3)
	v_add_f64 v[4:5], v[8:9], v[4:5]
	v_fma_f64 v[6:7], v[133:134], s[2:3], v[197:198]
	v_add_f64 v[2:3], v[10:11], v[2:3]
	s_delay_alu instid0(VALU_DEP_3) | instskip(NEXT) | instid1(VALU_DEP_2)
	v_add_f64 v[4:5], v[12:13], v[4:5]
	v_add_f64 v[133:134], v[6:7], v[2:3]
	s_delay_alu instid0(VALU_DEP_2)
	v_add_f64 v[135:136], v[0:1], v[4:5]
	ds_store_b128 v190, v[149:152] offset:32
	ds_store_b128 v190, v[153:156] offset:48
	;; [unrolled: 1-line block ×10, first 2 shown]
	ds_store_b128 v190, v[128:131]
	s_waitcnt lgkmcnt(0)
	s_barrier
	buffer_gl0_inv
	ds_load_b128 v[124:127], v186 offset:1936
	ds_load_b128 v[128:131], v186
	s_waitcnt lgkmcnt(1)
	v_mul_f64 v[0:1], v[50:51], v[126:127]
	v_mul_f64 v[2:3], v[50:51], v[124:125]
	s_delay_alu instid0(VALU_DEP_2) | instskip(NEXT) | instid1(VALU_DEP_2)
	v_fma_f64 v[0:1], v[48:49], v[124:125], v[0:1]
	v_fma_f64 v[2:3], v[48:49], v[126:127], -v[2:3]
	ds_load_b128 v[124:127], v186 offset:19360
	s_waitcnt lgkmcnt(0)
	v_mul_f64 v[4:5], v[106:107], v[124:125]
	s_delay_alu instid0(VALU_DEP_1) | instskip(SKIP_1) | instid1(VALU_DEP_1)
	v_fma_f64 v[48:49], v[104:105], v[126:127], -v[4:5]
	v_mul_f64 v[4:5], v[106:107], v[126:127]
	v_fma_f64 v[50:51], v[104:105], v[124:125], v[4:5]
	ds_load_b128 v[124:127], v186 offset:3872
	ds_load_b128 v[133:136], v186 offset:5808
	s_waitcnt lgkmcnt(1)
	v_mul_f64 v[4:5], v[58:59], v[124:125]
	v_add_f64 v[14:15], v[0:1], v[50:51]
	v_add_f64 v[34:35], v[0:1], -v[50:51]
	s_delay_alu instid0(VALU_DEP_3) | instskip(SKIP_1) | instid1(VALU_DEP_1)
	v_fma_f64 v[104:105], v[56:57], v[126:127], -v[4:5]
	v_mul_f64 v[4:5], v[58:59], v[126:127]
	v_fma_f64 v[106:107], v[56:57], v[124:125], v[4:5]
	ds_load_b128 v[124:127], v186 offset:17424
	ds_load_b128 v[137:140], v186 offset:15488
	s_waitcnt lgkmcnt(1)
	v_mul_f64 v[4:5], v[98:99], v[124:125]
	s_delay_alu instid0(VALU_DEP_1) | instskip(SKIP_1) | instid1(VALU_DEP_1)
	v_fma_f64 v[56:57], v[96:97], v[126:127], -v[4:5]
	v_mul_f64 v[4:5], v[98:99], v[126:127]
	v_fma_f64 v[58:59], v[96:97], v[124:125], v[4:5]
	v_mul_f64 v[4:5], v[114:115], v[133:134]
	s_delay_alu instid0(VALU_DEP_2) | instskip(NEXT) | instid1(VALU_DEP_2)
	v_add_f64 v[165:166], v[106:107], -v[58:59]
	v_fma_f64 v[124:125], v[112:113], v[135:136], -v[4:5]
	v_mul_f64 v[4:5], v[114:115], v[135:136]
	s_delay_alu instid0(VALU_DEP_1) | instskip(SKIP_2) | instid1(VALU_DEP_1)
	v_fma_f64 v[112:113], v[112:113], v[133:134], v[4:5]
	s_waitcnt lgkmcnt(0)
	v_mul_f64 v[4:5], v[118:119], v[137:138]
	v_fma_f64 v[96:97], v[116:117], v[139:140], -v[4:5]
	v_mul_f64 v[4:5], v[118:119], v[139:140]
	s_delay_alu instid0(VALU_DEP_2) | instskip(NEXT) | instid1(VALU_DEP_2)
	v_add_f64 v[145:146], v[124:125], -v[96:97]
	v_fma_f64 v[98:99], v[116:117], v[137:138], v[4:5]
	ds_load_b128 v[116:119], v186 offset:7744
	ds_load_b128 v[133:136], v186 offset:9680
	v_add_f64 v[147:148], v[124:125], v[96:97]
	s_waitcnt lgkmcnt(1)
	v_mul_f64 v[4:5], v[102:103], v[118:119]
	v_mul_f64 v[171:172], v[145:146], s[24:25]
	v_add_f64 v[169:170], v[112:113], v[98:99]
	v_add_f64 v[173:174], v[112:113], -v[98:99]
	v_mul_f64 v[175:176], v[147:148], s[12:13]
	v_mul_f64 v[163:164], v[145:146], s[28:29]
	;; [unrolled: 1-line block ×8, first 2 shown]
	v_fma_f64 v[114:115], v[100:101], v[116:117], v[4:5]
	v_mul_f64 v[4:5], v[102:103], v[116:117]
	s_delay_alu instid0(VALU_DEP_1) | instskip(SKIP_2) | instid1(VALU_DEP_1)
	v_fma_f64 v[100:101], v[100:101], v[118:119], -v[4:5]
	s_waitcnt lgkmcnt(0)
	v_mul_f64 v[4:5], v[122:123], v[135:136]
	v_fma_f64 v[102:103], v[120:121], v[133:134], v[4:5]
	v_mul_f64 v[4:5], v[122:123], v[133:134]
	s_delay_alu instid0(VALU_DEP_1)
	v_fma_f64 v[116:117], v[120:121], v[135:136], -v[4:5]
	ds_load_b128 v[120:123], v186 offset:11616
	ds_load_b128 v[133:136], v186 offset:13552
	s_waitcnt lgkmcnt(0)
	s_barrier
	buffer_gl0_inv
	v_mul_f64 v[4:5], v[110:111], v[122:123]
	s_delay_alu instid0(VALU_DEP_1) | instskip(SKIP_2) | instid1(VALU_DEP_3)
	v_fma_f64 v[118:119], v[108:109], v[120:121], v[4:5]
	v_mul_f64 v[4:5], v[110:111], v[120:121]
	v_add_f64 v[120:121], v[130:131], v[2:3]
	v_add_f64 v[187:188], v[102:103], v[118:119]
	s_delay_alu instid0(VALU_DEP_3) | instskip(SKIP_2) | instid1(VALU_DEP_3)
	v_fma_f64 v[108:109], v[108:109], v[122:123], -v[4:5]
	v_mul_f64 v[4:5], v[94:95], v[135:136]
	v_add_f64 v[192:193], v[102:103], -v[118:119]
	v_add_f64 v[153:154], v[116:117], -v[108:109]
	s_delay_alu instid0(VALU_DEP_3) | instskip(SKIP_2) | instid1(VALU_DEP_4)
	v_fma_f64 v[110:111], v[92:93], v[133:134], v[4:5]
	v_mul_f64 v[4:5], v[94:95], v[133:134]
	v_add_f64 v[94:95], v[128:129], v[0:1]
	v_mul_f64 v[190:191], v[153:154], s[22:23]
	s_delay_alu instid0(VALU_DEP_4) | instskip(NEXT) | instid1(VALU_DEP_4)
	v_add_f64 v[177:178], v[114:115], v[110:111]
	v_fma_f64 v[92:93], v[92:93], v[135:136], -v[4:5]
	v_add_f64 v[4:5], v[2:3], -v[48:49]
	v_add_f64 v[181:182], v[114:115], -v[110:111]
	v_mul_f64 v[202:203], v[153:154], s[34:35]
	v_mul_f64 v[210:211], v[153:154], s[18:19]
	;; [unrolled: 1-line block ×4, first 2 shown]
	v_add_f64 v[149:150], v[100:101], -v[92:93]
	v_mul_f64 v[6:7], v[4:5], s[20:21]
	v_mul_f64 v[8:9], v[4:5], s[26:27]
	;; [unrolled: 1-line block ×5, first 2 shown]
	v_add_f64 v[151:152], v[100:101], v[92:93]
	v_mul_f64 v[179:180], v[149:150], s[18:19]
	v_fma_f64 v[16:17], v[14:15], s[16:17], v[6:7]
	v_fma_f64 v[6:7], v[14:15], s[16:17], -v[6:7]
	v_fma_f64 v[18:19], v[14:15], s[14:15], v[8:9]
	v_fma_f64 v[8:9], v[14:15], s[14:15], -v[8:9]
	;; [unrolled: 2-line block ×5, first 2 shown]
	v_add_f64 v[14:15], v[2:3], v[48:49]
	v_mul_f64 v[183:184], v[151:152], s[8:9]
	v_mul_f64 v[198:199], v[149:150], s[30:31]
	;; [unrolled: 1-line block ×9, first 2 shown]
	v_add_f64 v[0:1], v[128:129], v[16:17]
	v_add_f64 v[6:7], v[128:129], v[6:7]
	;; [unrolled: 1-line block ×10, first 2 shown]
	v_mul_f64 v[30:31], v[14:15], s[12:13]
	v_mul_f64 v[26:27], v[14:15], s[16:17]
	;; [unrolled: 1-line block ×5, first 2 shown]
	v_fma_f64 v[40:41], v[34:35], s[30:31], v[30:31]
	v_fma_f64 v[36:37], v[34:35], s[34:35], v[26:27]
	;; [unrolled: 1-line block ×10, first 2 shown]
	v_add_f64 v[34:35], v[130:131], v[40:41]
	v_add_f64 v[40:41], v[104:105], -v[56:57]
	v_add_f64 v[2:3], v[130:131], v[36:37]
	v_add_f64 v[16:17], v[130:131], v[26:27]
	;; [unrolled: 1-line block ×11, first 2 shown]
	v_mul_f64 v[122:123], v[40:41], s[26:27]
	s_delay_alu instid0(VALU_DEP_2) | instskip(SKIP_4) | instid1(VALU_DEP_1)
	v_mul_f64 v[167:168], v[130:131], s[14:15]
	v_mul_f64 v[161:162], v[130:131], s[8:9]
	;; [unrolled: 1-line block ×4, first 2 shown]
	v_fma_f64 v[126:127], v[42:43], s[14:15], -v[122:123]
	v_add_f64 v[6:7], v[126:127], v[6:7]
	v_fma_f64 v[126:127], v[165:166], s[26:27], v[167:168]
	s_delay_alu instid0(VALU_DEP_1) | instskip(SKIP_1) | instid1(VALU_DEP_1)
	v_add_f64 v[16:17], v[126:127], v[16:17]
	v_fma_f64 v[126:127], v[169:170], s[12:13], -v[171:172]
	v_add_f64 v[6:7], v[126:127], v[6:7]
	v_fma_f64 v[126:127], v[173:174], s[24:25], v[175:176]
	s_delay_alu instid0(VALU_DEP_1) | instskip(SKIP_1) | instid1(VALU_DEP_1)
	v_add_f64 v[16:17], v[126:127], v[16:17]
	;; [unrolled: 5-line block ×3, first 2 shown]
	v_fma_f64 v[126:127], v[187:188], s[2:3], -v[190:191]
	v_add_f64 v[126:127], v[126:127], v[6:7]
	v_add_f64 v[6:7], v[116:117], v[108:109]
	s_delay_alu instid0(VALU_DEP_1) | instskip(NEXT) | instid1(VALU_DEP_1)
	v_mul_f64 v[194:195], v[6:7], s[2:3]
	v_fma_f64 v[128:129], v[192:193], s[22:23], v[194:195]
	s_delay_alu instid0(VALU_DEP_1) | instskip(SKIP_1) | instid1(VALU_DEP_1)
	v_add_f64 v[128:129], v[128:129], v[16:17]
	v_mul_f64 v[16:17], v[40:41], s[18:19]
	v_fma_f64 v[132:133], v[42:43], s[8:9], v[16:17]
	s_delay_alu instid0(VALU_DEP_1) | instskip(SKIP_1) | instid1(VALU_DEP_1)
	v_add_f64 v[18:19], v[132:133], v[18:19]
	v_fma_f64 v[132:133], v[165:166], s[10:11], v[161:162]
	v_add_f64 v[26:27], v[132:133], v[26:27]
	v_fma_f64 v[132:133], v[169:170], s[2:3], v[163:164]
	s_delay_alu instid0(VALU_DEP_1) | instskip(SKIP_1) | instid1(VALU_DEP_1)
	v_add_f64 v[18:19], v[132:133], v[18:19]
	v_fma_f64 v[132:133], v[173:174], s[22:23], v[196:197]
	v_add_f64 v[26:27], v[132:133], v[26:27]
	;; [unrolled: 5-line block ×3, first 2 shown]
	v_fma_f64 v[132:133], v[187:188], s[16:17], v[202:203]
	s_delay_alu instid0(VALU_DEP_1) | instskip(SKIP_1) | instid1(VALU_DEP_1)
	v_add_f64 v[133:134], v[132:133], v[18:19]
	v_mul_f64 v[18:19], v[6:7], s[16:17]
	v_fma_f64 v[135:136], v[192:193], s[20:21], v[18:19]
	s_delay_alu instid0(VALU_DEP_1) | instskip(SKIP_1) | instid1(VALU_DEP_1)
	v_add_f64 v[135:136], v[135:136], v[26:27]
	v_mul_f64 v[26:27], v[40:41], s[28:29]
	v_fma_f64 v[137:138], v[42:43], s[2:3], v[26:27]
	s_delay_alu instid0(VALU_DEP_1) | instskip(SKIP_1) | instid1(VALU_DEP_1)
	v_add_f64 v[20:21], v[137:138], v[20:21]
	v_fma_f64 v[137:138], v[165:166], s[22:23], v[157:158]
	v_add_f64 v[34:35], v[137:138], v[34:35]
	v_fma_f64 v[137:138], v[169:170], s[14:15], v[159:160]
	s_delay_alu instid0(VALU_DEP_1) | instskip(SKIP_1) | instid1(VALU_DEP_1)
	v_add_f64 v[20:21], v[137:138], v[20:21]
	v_fma_f64 v[137:138], v[173:174], s[26:27], v[204:205]
	v_add_f64 v[34:35], v[137:138], v[34:35]
	;; [unrolled: 5-line block ×3, first 2 shown]
	v_fma_f64 v[137:138], v[187:188], s[8:9], v[210:211]
	s_delay_alu instid0(VALU_DEP_1) | instskip(SKIP_1) | instid1(VALU_DEP_1)
	v_add_f64 v[137:138], v[137:138], v[20:21]
	v_mul_f64 v[20:21], v[6:7], s[8:9]
	v_fma_f64 v[139:140], v[192:193], s[10:11], v[20:21]
	s_delay_alu instid0(VALU_DEP_1) | instskip(SKIP_1) | instid1(VALU_DEP_1)
	v_add_f64 v[139:140], v[139:140], v[34:35]
	v_mul_f64 v[34:35], v[40:41], s[30:31]
	v_fma_f64 v[141:142], v[42:43], s[12:13], v[34:35]
	s_delay_alu instid0(VALU_DEP_1) | instskip(SKIP_1) | instid1(VALU_DEP_1)
	v_add_f64 v[22:23], v[141:142], v[22:23]
	v_fma_f64 v[141:142], v[165:166], s[24:25], v[155:156]
	v_add_f64 v[36:37], v[141:142], v[36:37]
	v_fma_f64 v[141:142], v[169:170], s[16:17], v[212:213]
	s_delay_alu instid0(VALU_DEP_1) | instskip(SKIP_1) | instid1(VALU_DEP_1)
	v_add_f64 v[22:23], v[141:142], v[22:23]
	v_fma_f64 v[141:142], v[173:174], s[34:35], v[214:215]
	v_add_f64 v[36:37], v[141:142], v[36:37]
	;; [unrolled: 5-line block ×3, first 2 shown]
	v_fma_f64 v[141:142], v[187:188], s[14:15], v[220:221]
	s_delay_alu instid0(VALU_DEP_1) | instskip(SKIP_2) | instid1(VALU_DEP_2)
	v_add_f64 v[141:142], v[141:142], v[22:23]
	v_mul_f64 v[22:23], v[6:7], s[14:15]
	v_mul_f64 v[6:7], v[6:7], s[12:13]
	v_fma_f64 v[143:144], v[192:193], s[26:27], v[22:23]
	s_delay_alu instid0(VALU_DEP_1) | instskip(SKIP_1) | instid1(VALU_DEP_1)
	v_add_f64 v[143:144], v[143:144], v[36:37]
	v_mul_f64 v[36:37], v[40:41], s[34:35]
	v_fma_f64 v[40:41], v[42:43], s[16:17], v[36:37]
	s_delay_alu instid0(VALU_DEP_1) | instskip(SKIP_1) | instid1(VALU_DEP_1)
	v_add_f64 v[24:25], v[40:41], v[24:25]
	;; [unrolled: 4-line block ×4, first 2 shown]
	v_fma_f64 v[145:146], v[173:174], s[10:11], v[222:223]
	v_add_f64 v[38:39], v[145:146], v[38:39]
	v_fma_f64 v[145:146], v[177:178], s[14:15], v[149:150]
	s_delay_alu instid0(VALU_DEP_1) | instskip(SKIP_1) | instid1(VALU_DEP_1)
	v_add_f64 v[24:25], v[145:146], v[24:25]
	v_fma_f64 v[145:146], v[181:182], s[26:27], v[151:152]
	v_add_f64 v[38:39], v[145:146], v[38:39]
	v_fma_f64 v[145:146], v[187:188], s[12:13], v[153:154]
	s_delay_alu instid0(VALU_DEP_1) | instskip(SKIP_2) | instid1(VALU_DEP_2)
	v_add_f64 v[145:146], v[145:146], v[24:25]
	v_fma_f64 v[24:25], v[192:193], s[30:31], v[6:7]
	v_fma_f64 v[6:7], v[192:193], s[24:25], v[6:7]
	v_add_f64 v[147:148], v[24:25], v[38:39]
	v_fma_f64 v[24:25], v[42:43], s[16:17], -v[36:37]
	s_delay_alu instid0(VALU_DEP_1) | instskip(SKIP_1) | instid1(VALU_DEP_1)
	v_add_f64 v[4:5], v[24:25], v[4:5]
	v_fma_f64 v[24:25], v[165:166], s[34:35], v[40:41]
	v_add_f64 v[14:15], v[24:25], v[14:15]
	v_fma_f64 v[24:25], v[169:170], s[8:9], -v[130:131]
	s_delay_alu instid0(VALU_DEP_1) | instskip(SKIP_1) | instid1(VALU_DEP_1)
	v_add_f64 v[4:5], v[24:25], v[4:5]
	;; [unrolled: 5-line block ×3, first 2 shown]
	v_fma_f64 v[24:25], v[181:182], s[36:37], v[151:152]
	v_add_f64 v[14:15], v[24:25], v[14:15]
	v_fma_f64 v[24:25], v[187:188], s[12:13], -v[153:154]
	s_delay_alu instid0(VALU_DEP_2) | instskip(NEXT) | instid1(VALU_DEP_2)
	v_add_f64 v[151:152], v[6:7], v[14:15]
	v_add_f64 v[149:150], v[24:25], v[4:5]
	v_fma_f64 v[4:5], v[42:43], s[12:13], -v[34:35]
	v_fma_f64 v[6:7], v[165:166], s[30:31], v[155:156]
	v_fma_f64 v[14:15], v[192:193], s[36:37], v[22:23]
	s_delay_alu instid0(VALU_DEP_3) | instskip(SKIP_1) | instid1(VALU_DEP_4)
	v_add_f64 v[4:5], v[4:5], v[12:13]
	v_fma_f64 v[12:13], v[169:170], s[16:17], -v[212:213]
	v_add_f64 v[6:7], v[6:7], v[32:33]
	s_delay_alu instid0(VALU_DEP_2) | instskip(SKIP_1) | instid1(VALU_DEP_1)
	v_add_f64 v[4:5], v[12:13], v[4:5]
	v_fma_f64 v[12:13], v[173:174], s[20:21], v[214:215]
	v_add_f64 v[6:7], v[12:13], v[6:7]
	v_fma_f64 v[12:13], v[177:178], s[2:3], -v[216:217]
	s_delay_alu instid0(VALU_DEP_1) | instskip(SKIP_1) | instid1(VALU_DEP_1)
	v_add_f64 v[4:5], v[12:13], v[4:5]
	v_fma_f64 v[12:13], v[181:182], s[22:23], v[218:219]
	v_add_f64 v[6:7], v[12:13], v[6:7]
	v_fma_f64 v[12:13], v[187:188], s[14:15], -v[220:221]
	s_delay_alu instid0(VALU_DEP_2) | instskip(NEXT) | instid1(VALU_DEP_2)
	v_add_f64 v[155:156], v[14:15], v[6:7]
	v_add_f64 v[153:154], v[12:13], v[4:5]
	v_fma_f64 v[4:5], v[42:43], s[2:3], -v[26:27]
	v_fma_f64 v[6:7], v[165:166], s[28:29], v[157:158]
	v_fma_f64 v[12:13], v[192:193], s[18:19], v[20:21]
	s_delay_alu instid0(VALU_DEP_3) | instskip(SKIP_1) | instid1(VALU_DEP_4)
	v_add_f64 v[4:5], v[4:5], v[10:11]
	v_fma_f64 v[10:11], v[169:170], s[14:15], -v[159:160]
	v_add_f64 v[6:7], v[6:7], v[30:31]
	s_delay_alu instid0(VALU_DEP_2) | instskip(SKIP_1) | instid1(VALU_DEP_1)
	v_add_f64 v[4:5], v[10:11], v[4:5]
	v_fma_f64 v[10:11], v[173:174], s[36:37], v[204:205]
	v_add_f64 v[6:7], v[10:11], v[6:7]
	v_fma_f64 v[10:11], v[177:178], s[16:17], -v[206:207]
	s_delay_alu instid0(VALU_DEP_1) | instskip(SKIP_1) | instid1(VALU_DEP_1)
	v_add_f64 v[4:5], v[10:11], v[4:5]
	;; [unrolled: 20-line block ×3, first 2 shown]
	v_fma_f64 v[8:9], v[181:182], s[30:31], v[200:201]
	v_add_f64 v[6:7], v[8:9], v[6:7]
	v_fma_f64 v[8:9], v[187:188], s[16:17], -v[202:203]
	s_delay_alu instid0(VALU_DEP_2) | instskip(NEXT) | instid1(VALU_DEP_2)
	v_add_f64 v[163:164], v[10:11], v[6:7]
	v_add_f64 v[161:162], v[8:9], v[4:5]
	v_fma_f64 v[4:5], v[42:43], s[14:15], v[122:123]
	v_fma_f64 v[6:7], v[165:166], s[36:37], v[167:168]
	;; [unrolled: 1-line block ×4, first 2 shown]
	s_delay_alu instid0(VALU_DEP_4) | instskip(NEXT) | instid1(VALU_DEP_4)
	v_add_f64 v[0:1], v[4:5], v[0:1]
	v_add_f64 v[2:3], v[6:7], v[2:3]
	v_fma_f64 v[4:5], v[177:178], s[8:9], v[179:180]
	v_fma_f64 v[6:7], v[181:182], s[10:11], v[183:184]
	s_delay_alu instid0(VALU_DEP_4) | instskip(NEXT) | instid1(VALU_DEP_4)
	v_add_f64 v[0:1], v[8:9], v[0:1]
	v_add_f64 v[2:3], v[10:11], v[2:3]
	v_fma_f64 v[8:9], v[187:188], s[2:3], v[190:191]
	v_fma_f64 v[10:11], v[192:193], s[28:29], v[194:195]
	s_delay_alu instid0(VALU_DEP_4) | instskip(NEXT) | instid1(VALU_DEP_4)
	v_add_f64 v[0:1], v[4:5], v[0:1]
	v_add_f64 v[2:3], v[6:7], v[2:3]
	s_delay_alu instid0(VALU_DEP_2) | instskip(NEXT) | instid1(VALU_DEP_2)
	v_add_f64 v[165:166], v[8:9], v[0:1]
	v_add_f64 v[167:168], v[10:11], v[2:3]
	;; [unrolled: 1-line block ×4, first 2 shown]
	s_delay_alu instid0(VALU_DEP_2) | instskip(NEXT) | instid1(VALU_DEP_2)
	v_add_f64 v[0:1], v[0:1], v[112:113]
	v_add_f64 v[2:3], v[2:3], v[124:125]
	s_delay_alu instid0(VALU_DEP_2) | instskip(NEXT) | instid1(VALU_DEP_2)
	v_add_f64 v[0:1], v[0:1], v[114:115]
	v_add_f64 v[2:3], v[2:3], v[100:101]
	;; [unrolled: 3-line block ×8, first 2 shown]
	ds_store_b128 v189, v[133:136] offset:352
	ds_store_b128 v189, v[137:140] offset:528
	;; [unrolled: 1-line block ×10, first 2 shown]
	ds_store_b128 v189, v[56:59]
	s_waitcnt lgkmcnt(0)
	s_barrier
	buffer_gl0_inv
	ds_load_b128 v[48:51], v186 offset:1936
	ds_load_b128 v[56:59], v186
	s_waitcnt lgkmcnt(1)
	v_mul_f64 v[0:1], v[46:47], v[50:51]
	v_mul_f64 v[2:3], v[46:47], v[48:49]
	s_delay_alu instid0(VALU_DEP_2) | instskip(NEXT) | instid1(VALU_DEP_2)
	v_fma_f64 v[0:1], v[44:45], v[48:49], v[0:1]
	v_fma_f64 v[2:3], v[44:45], v[50:51], -v[2:3]
	ds_load_b128 v[44:47], v186 offset:3872
	ds_load_b128 v[48:51], v186 offset:5808
	s_waitcnt lgkmcnt(1)
	v_mul_f64 v[4:5], v[54:55], v[44:45]
	v_mul_f64 v[6:7], v[54:55], v[46:47]
	s_waitcnt lgkmcnt(0)
	v_mul_f64 v[12:13], v[82:83], v[48:49]
	v_mul_f64 v[14:15], v[82:83], v[50:51]
	s_delay_alu instid0(VALU_DEP_4) | instskip(NEXT) | instid1(VALU_DEP_4)
	v_fma_f64 v[4:5], v[52:53], v[46:47], -v[4:5]
	v_fma_f64 v[6:7], v[52:53], v[44:45], v[6:7]
	ds_load_b128 v[44:47], v186 offset:19360
	v_fma_f64 v[12:13], v[80:81], v[50:51], -v[12:13]
	v_fma_f64 v[14:15], v[80:81], v[48:49], v[14:15]
	s_waitcnt lgkmcnt(0)
	v_mul_f64 v[8:9], v[74:75], v[44:45]
	v_mul_f64 v[10:11], v[74:75], v[46:47]
	s_delay_alu instid0(VALU_DEP_2) | instskip(NEXT) | instid1(VALU_DEP_2)
	v_fma_f64 v[8:9], v[72:73], v[46:47], -v[8:9]
	v_fma_f64 v[10:11], v[72:73], v[44:45], v[10:11]
	ds_load_b128 v[44:47], v186 offset:17424
	ds_load_b128 v[48:51], v186 offset:15488
	s_waitcnt lgkmcnt(1)
	v_mul_f64 v[16:17], v[62:63], v[44:45]
	v_mul_f64 v[18:19], v[62:63], v[46:47]
	s_waitcnt lgkmcnt(0)
	v_mul_f64 v[20:21], v[90:91], v[48:49]
	v_mul_f64 v[22:23], v[90:91], v[50:51]
	v_add_f64 v[40:41], v[2:3], -v[8:9]
	v_add_f64 v[74:75], v[0:1], -v[10:11]
	v_fma_f64 v[16:17], v[60:61], v[46:47], -v[16:17]
	v_fma_f64 v[18:19], v[60:61], v[44:45], v[18:19]
	v_fma_f64 v[20:21], v[88:89], v[50:51], -v[20:21]
	v_fma_f64 v[22:23], v[88:89], v[48:49], v[22:23]
	ds_load_b128 v[44:47], v186 offset:7744
	ds_load_b128 v[48:51], v186 offset:9680
	v_mul_f64 v[42:43], v[40:41], s[20:21]
	s_waitcnt lgkmcnt(1)
	v_mul_f64 v[24:25], v[70:71], v[46:47]
	v_mul_f64 v[26:27], v[70:71], v[44:45]
	s_waitcnt lgkmcnt(0)
	v_mul_f64 v[32:33], v[78:79], v[50:51]
	v_mul_f64 v[34:35], v[78:79], v[48:49]
	v_add_f64 v[92:93], v[4:5], -v[16:17]
	v_add_f64 v[94:95], v[6:7], v[18:19]
	v_add_f64 v[98:99], v[4:5], v[16:17]
	v_add_f64 v[104:105], v[12:13], -v[20:21]
	v_add_f64 v[100:101], v[6:7], -v[18:19]
	v_add_f64 v[106:107], v[14:15], v[22:23]
	v_add_f64 v[110:111], v[12:13], v[20:21]
	v_add_f64 v[112:113], v[14:15], -v[22:23]
	v_fma_f64 v[24:25], v[68:69], v[44:45], v[24:25]
	v_fma_f64 v[26:27], v[68:69], v[46:47], -v[26:27]
	ds_load_b128 v[44:47], v186 offset:13552
	ds_load_b128 v[52:55], v186 offset:11616
	v_fma_f64 v[32:33], v[76:77], v[48:49], v[32:33]
	v_fma_f64 v[34:35], v[76:77], v[50:51], -v[34:35]
	v_mul_f64 v[48:49], v[40:41], s[18:19]
	v_add_f64 v[50:51], v[0:1], v[10:11]
	v_add_f64 v[0:1], v[56:57], v[0:1]
	v_mul_f64 v[96:97], v[92:93], s[26:27]
	v_mul_f64 v[138:139], v[92:93], s[18:19]
	;; [unrolled: 1-line block ×6, first 2 shown]
	s_waitcnt lgkmcnt(1)
	v_mul_f64 v[28:29], v[86:87], v[46:47]
	v_mul_f64 v[30:31], v[86:87], v[44:45]
	s_waitcnt lgkmcnt(0)
	v_mul_f64 v[36:37], v[66:67], v[54:55]
	v_mul_f64 v[38:39], v[66:67], v[52:53]
	;; [unrolled: 1-line block ×10, first 2 shown]
	v_fma_f64 v[62:63], v[50:51], s[8:9], v[48:49]
	v_fma_f64 v[48:49], v[50:51], s[8:9], -v[48:49]
	v_add_f64 v[0:1], v[0:1], v[6:7]
	v_fma_f64 v[28:29], v[84:85], v[44:45], v[28:29]
	v_fma_f64 v[30:31], v[84:85], v[46:47], -v[30:31]
	v_mul_f64 v[44:45], v[40:41], s[26:27]
	v_mul_f64 v[46:47], v[40:41], s[24:25]
	;; [unrolled: 1-line block ×3, first 2 shown]
	v_fma_f64 v[36:37], v[64:65], v[52:53], v[36:37]
	v_fma_f64 v[38:39], v[64:65], v[54:55], -v[38:39]
	v_fma_f64 v[52:53], v[50:51], s[16:17], v[42:43]
	v_fma_f64 v[42:43], v[50:51], s[16:17], -v[42:43]
	v_add_f64 v[62:63], v[56:57], v[62:63]
	v_add_f64 v[0:1], v[0:1], v[14:15]
	;; [unrolled: 1-line block ×3, first 2 shown]
	v_add_f64 v[116:117], v[26:27], -v[30:31]
	v_fma_f64 v[54:55], v[50:51], s[14:15], v[44:45]
	v_fma_f64 v[44:45], v[50:51], s[14:15], -v[44:45]
	v_fma_f64 v[60:61], v[50:51], s[12:13], v[46:47]
	v_fma_f64 v[46:47], v[50:51], s[12:13], -v[46:47]
	;; [unrolled: 2-line block ×3, first 2 shown]
	v_add_f64 v[50:51], v[2:3], v[8:9]
	v_add_f64 v[42:43], v[56:57], v[42:43]
	;; [unrolled: 1-line block ×4, first 2 shown]
	v_add_f64 v[124:125], v[24:25], -v[28:29]
	v_add_f64 v[128:129], v[34:35], -v[38:39]
	v_add_f64 v[130:131], v[32:33], v[36:37]
	v_add_f64 v[134:135], v[32:33], -v[36:37]
	v_add_f64 v[2:3], v[58:59], v[2:3]
	v_add_f64 v[0:1], v[0:1], v[24:25]
	v_mul_f64 v[120:121], v[116:117], s[18:19]
	v_add_f64 v[54:55], v[56:57], v[54:55]
	v_mul_f64 v[146:147], v[116:117], s[30:31]
	;; [unrolled: 2-line block ×3, first 2 shown]
	v_add_f64 v[64:65], v[56:57], v[64:65]
	v_add_f64 v[40:41], v[56:57], v[40:41]
	v_mul_f64 v[66:67], v[50:51], s[16:17]
	v_mul_f64 v[68:69], v[50:51], s[14:15]
	;; [unrolled: 1-line block ×14, first 2 shown]
	v_add_f64 v[2:3], v[2:3], v[4:5]
	v_add_f64 v[0:1], v[0:1], v[32:33]
	v_fma_f64 v[76:77], v[74:75], s[34:35], v[66:67]
	v_fma_f64 v[66:67], v[74:75], s[20:21], v[66:67]
	;; [unrolled: 1-line block ×10, first 2 shown]
	v_add_f64 v[74:75], v[56:57], v[46:47]
	v_fma_f64 v[46:47], v[106:107], s[12:13], -v[108:109]
	v_add_f64 v[2:3], v[2:3], v[12:13]
	v_add_f64 v[0:1], v[0:1], v[36:37]
	;; [unrolled: 1-line block ×4, first 2 shown]
	v_fma_f64 v[44:45], v[94:95], s[14:15], -v[96:97]
	v_add_f64 v[52:53], v[58:59], v[66:67]
	v_add_f64 v[66:67], v[58:59], v[78:79]
	;; [unrolled: 1-line block ×8, first 2 shown]
	v_fma_f64 v[50:51], v[100:101], s[10:11], v[140:141]
	v_fma_f64 v[56:57], v[106:107], s[14:15], v[158:159]
	v_add_f64 v[72:73], v[58:59], v[72:73]
	v_add_f64 v[84:85], v[58:59], v[84:85]
	v_fma_f64 v[58:59], v[100:101], s[24:25], v[170:171]
	v_add_f64 v[2:3], v[2:3], v[26:27]
	v_add_f64 v[0:1], v[0:1], v[28:29]
	;; [unrolled: 1-line block ×3, first 2 shown]
	v_fma_f64 v[44:45], v[100:101], s[26:27], v[102:103]
	v_add_f64 v[50:51], v[50:51], v[66:67]
	v_mul_f64 v[66:67], v[92:93], s[34:35]
	v_add_f64 v[58:59], v[58:59], v[70:71]
	v_mul_f64 v[70:71], v[104:105], s[20:21]
	v_add_f64 v[2:3], v[2:3], v[34:35]
	v_add_f64 v[0:1], v[0:1], v[22:23]
	;; [unrolled: 1-line block ×4, first 2 shown]
	v_fma_f64 v[46:47], v[112:113], s[24:25], v[114:115]
	v_fma_f64 v[52:53], v[106:107], s[2:3], v[142:143]
	v_add_f64 v[2:3], v[2:3], v[38:39]
	v_add_f64 v[0:1], v[0:1], v[18:19]
	s_delay_alu instid0(VALU_DEP_4) | instskip(SKIP_1) | instid1(VALU_DEP_4)
	v_add_f64 v[44:45], v[46:47], v[44:45]
	v_fma_f64 v[46:47], v[118:119], s[8:9], -v[120:121]
	v_add_f64 v[2:3], v[2:3], v[30:31]
	s_delay_alu instid0(VALU_DEP_2) | instskip(SKIP_1) | instid1(VALU_DEP_3)
	v_add_f64 v[42:43], v[46:47], v[42:43]
	v_fma_f64 v[46:47], v[124:125], s[18:19], v[126:127]
	v_add_f64 v[2:3], v[2:3], v[20:21]
	s_delay_alu instid0(VALU_DEP_2) | instskip(SKIP_1) | instid1(VALU_DEP_3)
	v_add_f64 v[46:47], v[46:47], v[44:45]
	v_fma_f64 v[44:45], v[130:131], s[2:3], -v[132:133]
	v_add_f64 v[2:3], v[2:3], v[16:17]
	s_delay_alu instid0(VALU_DEP_2) | instskip(SKIP_1) | instid1(VALU_DEP_1)
	v_add_f64 v[44:45], v[44:45], v[42:43]
	v_add_f64 v[42:43], v[34:35], v[38:39]
	v_mul_f64 v[136:137], v[42:43], s[2:3]
	v_mul_f64 v[152:153], v[42:43], s[16:17]
	;; [unrolled: 1-line block ×5, first 2 shown]
	v_fma_f64 v[48:49], v[134:135], s[22:23], v[136:137]
	s_delay_alu instid0(VALU_DEP_1) | instskip(SKIP_1) | instid1(VALU_DEP_1)
	v_add_f64 v[46:47], v[48:49], v[46:47]
	v_fma_f64 v[48:49], v[94:95], s[8:9], v[138:139]
	v_add_f64 v[48:49], v[48:49], v[54:55]
	v_fma_f64 v[54:55], v[100:101], s[22:23], v[156:157]
	s_delay_alu instid0(VALU_DEP_2) | instskip(SKIP_1) | instid1(VALU_DEP_3)
	v_add_f64 v[48:49], v[52:53], v[48:49]
	v_fma_f64 v[52:53], v[112:113], s[22:23], v[144:145]
	v_add_f64 v[54:55], v[54:55], v[68:69]
	v_mul_f64 v[68:69], v[92:93], s[30:31]
	s_delay_alu instid0(VALU_DEP_3) | instskip(SKIP_1) | instid1(VALU_DEP_1)
	v_add_f64 v[50:51], v[52:53], v[50:51]
	v_fma_f64 v[52:53], v[118:119], s[12:13], v[146:147]
	v_add_f64 v[48:49], v[52:53], v[48:49]
	v_fma_f64 v[52:53], v[124:125], s[24:25], v[148:149]
	s_delay_alu instid0(VALU_DEP_1) | instskip(SKIP_1) | instid1(VALU_DEP_1)
	v_add_f64 v[50:51], v[52:53], v[50:51]
	v_fma_f64 v[52:53], v[130:131], s[16:17], v[150:151]
	v_add_f64 v[48:49], v[52:53], v[48:49]
	v_fma_f64 v[52:53], v[134:135], s[20:21], v[152:153]
	s_delay_alu instid0(VALU_DEP_1) | instskip(SKIP_1) | instid1(VALU_DEP_1)
	v_add_f64 v[50:51], v[52:53], v[50:51]
	v_fma_f64 v[52:53], v[94:95], s[2:3], v[154:155]
	v_add_f64 v[52:53], v[52:53], v[60:61]
	v_fma_f64 v[60:61], v[106:107], s[16:17], v[70:71]
	s_delay_alu instid0(VALU_DEP_2) | instskip(SKIP_1) | instid1(VALU_DEP_1)
	v_add_f64 v[52:53], v[56:57], v[52:53]
	v_fma_f64 v[56:57], v[112:113], s[26:27], v[160:161]
	v_add_f64 v[54:55], v[56:57], v[54:55]
	v_fma_f64 v[56:57], v[118:119], s[16:17], v[162:163]
	s_delay_alu instid0(VALU_DEP_1) | instskip(SKIP_1) | instid1(VALU_DEP_1)
	v_add_f64 v[52:53], v[56:57], v[52:53]
	v_fma_f64 v[56:57], v[124:125], s[34:35], v[164:165]
	v_add_f64 v[54:55], v[56:57], v[54:55]
	v_fma_f64 v[56:57], v[130:131], s[8:9], v[166:167]
	s_delay_alu instid0(VALU_DEP_1) | instskip(SKIP_1) | instid1(VALU_DEP_1)
	v_add_f64 v[52:53], v[56:57], v[52:53]
	v_fma_f64 v[56:57], v[134:135], s[10:11], v[168:169]
	v_add_f64 v[54:55], v[56:57], v[54:55]
	v_fma_f64 v[56:57], v[94:95], s[12:13], v[68:69]
	s_delay_alu instid0(VALU_DEP_1) | instskip(NEXT) | instid1(VALU_DEP_1)
	v_add_f64 v[56:57], v[56:57], v[62:63]
	v_add_f64 v[56:57], v[60:61], v[56:57]
	v_fma_f64 v[60:61], v[112:113], s[34:35], v[172:173]
	s_delay_alu instid0(VALU_DEP_1) | instskip(SKIP_1) | instid1(VALU_DEP_1)
	v_add_f64 v[58:59], v[60:61], v[58:59]
	v_fma_f64 v[60:61], v[118:119], s[2:3], v[174:175]
	v_add_f64 v[56:57], v[60:61], v[56:57]
	v_fma_f64 v[60:61], v[124:125], s[28:29], v[176:177]
	s_delay_alu instid0(VALU_DEP_1) | instskip(SKIP_1) | instid1(VALU_DEP_1)
	v_add_f64 v[58:59], v[60:61], v[58:59]
	v_fma_f64 v[60:61], v[130:131], s[14:15], v[178:179]
	v_add_f64 v[56:57], v[60:61], v[56:57]
	v_fma_f64 v[60:61], v[134:135], s[26:27], v[180:181]
	s_delay_alu instid0(VALU_DEP_1) | instskip(SKIP_2) | instid1(VALU_DEP_2)
	v_add_f64 v[58:59], v[60:61], v[58:59]
	v_fma_f64 v[60:61], v[94:95], s[16:17], v[66:67]
	v_fma_f64 v[66:67], v[94:95], s[16:17], -v[66:67]
	v_add_f64 v[60:61], v[60:61], v[64:65]
	v_mul_f64 v[64:65], v[98:99], s[16:17]
	s_delay_alu instid0(VALU_DEP_3) | instskip(NEXT) | instid1(VALU_DEP_2)
	v_add_f64 v[40:41], v[66:67], v[40:41]
	v_fma_f64 v[62:63], v[100:101], s[20:21], v[64:65]
	v_fma_f64 v[64:65], v[100:101], s[34:35], v[64:65]
	s_delay_alu instid0(VALU_DEP_2) | instskip(SKIP_1) | instid1(VALU_DEP_3)
	v_add_f64 v[62:63], v[62:63], v[84:85]
	v_mul_f64 v[84:85], v[104:105], s[18:19]
	v_add_f64 v[64:65], v[64:65], v[90:91]
	s_delay_alu instid0(VALU_DEP_2) | instskip(SKIP_2) | instid1(VALU_DEP_3)
	v_fma_f64 v[92:93], v[106:107], s[8:9], v[84:85]
	v_fma_f64 v[66:67], v[106:107], s[8:9], -v[84:85]
	v_fma_f64 v[84:85], v[118:119], s[8:9], v[120:121]
	v_add_f64 v[60:61], v[92:93], v[60:61]
	v_mul_f64 v[92:93], v[110:111], s[8:9]
	s_delay_alu instid0(VALU_DEP_4) | instskip(NEXT) | instid1(VALU_DEP_2)
	v_add_f64 v[40:41], v[66:67], v[40:41]
	v_fma_f64 v[98:99], v[112:113], s[10:11], v[92:93]
	v_fma_f64 v[66:67], v[112:113], s[18:19], v[92:93]
	s_delay_alu instid0(VALU_DEP_2) | instskip(SKIP_1) | instid1(VALU_DEP_3)
	v_add_f64 v[62:63], v[98:99], v[62:63]
	v_mul_f64 v[98:99], v[116:117], s[36:37]
	v_add_f64 v[64:65], v[66:67], v[64:65]
	s_delay_alu instid0(VALU_DEP_2) | instskip(SKIP_1) | instid1(VALU_DEP_2)
	v_fma_f64 v[104:105], v[118:119], s[14:15], v[98:99]
	v_fma_f64 v[66:67], v[118:119], s[14:15], -v[98:99]
	v_add_f64 v[60:61], v[104:105], v[60:61]
	v_mul_f64 v[104:105], v[122:123], s[14:15]
	s_delay_alu instid0(VALU_DEP_3) | instskip(NEXT) | instid1(VALU_DEP_2)
	v_add_f64 v[40:41], v[66:67], v[40:41]
	v_fma_f64 v[110:111], v[124:125], s[26:27], v[104:105]
	v_fma_f64 v[66:67], v[124:125], s[36:37], v[104:105]
	s_delay_alu instid0(VALU_DEP_2) | instskip(SKIP_1) | instid1(VALU_DEP_3)
	v_add_f64 v[62:63], v[110:111], v[62:63]
	v_mul_f64 v[110:111], v[128:129], s[24:25]
	v_add_f64 v[66:67], v[66:67], v[64:65]
	s_delay_alu instid0(VALU_DEP_2) | instskip(SKIP_1) | instid1(VALU_DEP_2)
	v_fma_f64 v[116:117], v[130:131], s[12:13], v[110:111]
	v_fma_f64 v[64:65], v[130:131], s[12:13], -v[110:111]
	v_add_f64 v[60:61], v[116:117], v[60:61]
	v_fma_f64 v[116:117], v[134:135], s[30:31], v[42:43]
	v_fma_f64 v[42:43], v[134:135], s[24:25], v[42:43]
	s_delay_alu instid0(VALU_DEP_4)
	v_add_f64 v[64:65], v[64:65], v[40:41]
	v_fma_f64 v[40:41], v[94:95], s[12:13], -v[68:69]
	v_fma_f64 v[68:69], v[106:107], s[16:17], -v[70:71]
	v_fma_f64 v[70:71], v[134:135], s[36:37], v[180:181]
	v_add_f64 v[62:63], v[116:117], v[62:63]
	v_add_f64 v[66:67], v[42:43], v[66:67]
	v_fma_f64 v[42:43], v[100:101], s[30:31], v[170:171]
	v_add_f64 v[40:41], v[40:41], v[82:83]
	v_fma_f64 v[82:83], v[112:113], s[30:31], v[114:115]
	s_delay_alu instid0(VALU_DEP_3) | instskip(NEXT) | instid1(VALU_DEP_3)
	v_add_f64 v[42:43], v[42:43], v[72:73]
	v_add_f64 v[40:41], v[68:69], v[40:41]
	v_fma_f64 v[68:69], v[112:113], s[20:21], v[172:173]
	v_fma_f64 v[72:73], v[106:107], s[14:15], -v[158:159]
	s_delay_alu instid0(VALU_DEP_2) | instskip(SKIP_1) | instid1(VALU_DEP_1)
	v_add_f64 v[42:43], v[68:69], v[42:43]
	v_fma_f64 v[68:69], v[118:119], s[2:3], -v[174:175]
	v_add_f64 v[40:41], v[68:69], v[40:41]
	v_fma_f64 v[68:69], v[124:125], s[22:23], v[176:177]
	s_delay_alu instid0(VALU_DEP_1) | instskip(SKIP_1) | instid1(VALU_DEP_2)
	v_add_f64 v[42:43], v[68:69], v[42:43]
	v_fma_f64 v[68:69], v[130:131], s[14:15], -v[178:179]
	v_add_f64 v[70:71], v[70:71], v[42:43]
	s_delay_alu instid0(VALU_DEP_2) | instskip(SKIP_2) | instid1(VALU_DEP_2)
	v_add_f64 v[68:69], v[68:69], v[40:41]
	v_fma_f64 v[40:41], v[94:95], s[2:3], -v[154:155]
	v_fma_f64 v[42:43], v[100:101], s[28:29], v[156:157]
	v_add_f64 v[40:41], v[40:41], v[74:75]
	s_delay_alu instid0(VALU_DEP_2) | instskip(SKIP_2) | instid1(VALU_DEP_4)
	v_add_f64 v[42:43], v[42:43], v[80:81]
	v_fma_f64 v[74:75], v[134:135], s[18:19], v[168:169]
	v_fma_f64 v[80:81], v[106:107], s[12:13], v[108:109]
	v_add_f64 v[40:41], v[72:73], v[40:41]
	v_fma_f64 v[72:73], v[112:113], s[36:37], v[160:161]
	s_delay_alu instid0(VALU_DEP_1) | instskip(SKIP_1) | instid1(VALU_DEP_1)
	v_add_f64 v[42:43], v[72:73], v[42:43]
	v_fma_f64 v[72:73], v[118:119], s[16:17], -v[162:163]
	v_add_f64 v[40:41], v[72:73], v[40:41]
	v_fma_f64 v[72:73], v[124:125], s[20:21], v[164:165]
	s_delay_alu instid0(VALU_DEP_1) | instskip(SKIP_1) | instid1(VALU_DEP_2)
	v_add_f64 v[42:43], v[72:73], v[42:43]
	v_fma_f64 v[72:73], v[130:131], s[8:9], -v[166:167]
	v_add_f64 v[74:75], v[74:75], v[42:43]
	s_delay_alu instid0(VALU_DEP_2) | instskip(SKIP_2) | instid1(VALU_DEP_2)
	v_add_f64 v[72:73], v[72:73], v[40:41]
	v_fma_f64 v[40:41], v[94:95], s[8:9], -v[138:139]
	v_fma_f64 v[42:43], v[100:101], s[18:19], v[140:141]
	v_add_f64 v[40:41], v[40:41], v[76:77]
	v_fma_f64 v[76:77], v[106:107], s[2:3], -v[142:143]
	s_delay_alu instid0(VALU_DEP_3) | instskip(SKIP_1) | instid1(VALU_DEP_3)
	v_add_f64 v[42:43], v[42:43], v[78:79]
	v_fma_f64 v[78:79], v[134:135], s[34:35], v[152:153]
	v_add_f64 v[40:41], v[76:77], v[40:41]
	v_fma_f64 v[76:77], v[112:113], s[28:29], v[144:145]
	s_delay_alu instid0(VALU_DEP_1) | instskip(SKIP_1) | instid1(VALU_DEP_1)
	v_add_f64 v[42:43], v[76:77], v[42:43]
	v_fma_f64 v[76:77], v[118:119], s[12:13], -v[146:147]
	v_add_f64 v[40:41], v[76:77], v[40:41]
	v_fma_f64 v[76:77], v[124:125], s[30:31], v[148:149]
	s_delay_alu instid0(VALU_DEP_1) | instskip(SKIP_1) | instid1(VALU_DEP_2)
	v_add_f64 v[42:43], v[76:77], v[42:43]
	v_fma_f64 v[76:77], v[130:131], s[16:17], -v[150:151]
	v_add_f64 v[78:79], v[78:79], v[42:43]
	s_delay_alu instid0(VALU_DEP_2) | instskip(SKIP_2) | instid1(VALU_DEP_2)
	v_add_f64 v[76:77], v[76:77], v[40:41]
	v_fma_f64 v[40:41], v[94:95], s[14:15], v[96:97]
	v_fma_f64 v[42:43], v[100:101], s[36:37], v[102:103]
	v_add_f64 v[40:41], v[40:41], v[86:87]
	s_delay_alu instid0(VALU_DEP_2) | instskip(SKIP_1) | instid1(VALU_DEP_3)
	v_add_f64 v[42:43], v[42:43], v[88:89]
	v_fma_f64 v[86:87], v[124:125], s[10:11], v[126:127]
	v_add_f64 v[40:41], v[80:81], v[40:41]
	s_delay_alu instid0(VALU_DEP_3) | instskip(SKIP_4) | instid1(SALU_CYCLE_1)
	v_add_f64 v[42:43], v[82:83], v[42:43]
	v_fma_f64 v[80:81], v[130:131], s[2:3], v[132:133]
	v_fma_f64 v[82:83], v[134:135], s[28:29], v[136:137]
	s_mul_i32 s2, s5, 0x790
	s_mul_hi_u32 s3, s4, 0x790
	s_add_i32 s3, s3, s2
	s_delay_alu instid0(VALU_DEP_4) | instskip(NEXT) | instid1(VALU_DEP_4)
	v_add_f64 v[40:41], v[84:85], v[40:41]
	v_add_f64 v[42:43], v[86:87], v[42:43]
	;; [unrolled: 1-line block ×4, first 2 shown]
	s_delay_alu instid0(VALU_DEP_4) | instskip(NEXT) | instid1(VALU_DEP_4)
	v_add_f64 v[80:81], v[80:81], v[40:41]
	v_add_f64 v[82:83], v[82:83], v[42:43]
	ds_store_b128 v186, v[48:51] offset:3872
	ds_store_b128 v186, v[52:55] offset:5808
	;; [unrolled: 1-line block ×10, first 2 shown]
	ds_store_b128 v186, v[84:87]
	s_waitcnt lgkmcnt(0)
	s_barrier
	buffer_gl0_inv
	ds_load_b128 v[44:47], v186
	ds_load_b128 v[48:51], v186 offset:1936
	scratch_load_b128 v[2:5], off, off offset:24 ; 16-byte Folded Reload
	s_waitcnt vmcnt(0) lgkmcnt(1)
	v_mul_f64 v[0:1], v[4:5], v[46:47]
	s_delay_alu instid0(VALU_DEP_1) | instskip(SKIP_1) | instid1(VALU_DEP_1)
	v_fma_f64 v[8:9], v[2:3], v[44:45], v[0:1]
	v_mul_f64 v[0:1], v[4:5], v[44:45]
	v_fma_f64 v[10:11], v[2:3], v[46:47], -v[0:1]
	scratch_load_b128 v[2:5], off, off offset:40 ; 16-byte Folded Reload
	s_waitcnt vmcnt(0) lgkmcnt(0)
	v_mul_f64 v[0:1], v[4:5], v[50:51]
	s_delay_alu instid0(VALU_DEP_1) | instskip(SKIP_1) | instid1(VALU_DEP_1)
	v_fma_f64 v[12:13], v[2:3], v[48:49], v[0:1]
	v_mul_f64 v[0:1], v[4:5], v[48:49]
	v_fma_f64 v[14:15], v[2:3], v[50:51], -v[0:1]
	ds_load_b128 v[0:3], v186 offset:3872
	ds_load_b128 v[4:7], v186 offset:5808
	s_clause 0x1
	scratch_load_b128 v[18:21], off, off offset:8
	scratch_load_b128 v[22:25], off, off offset:72
	s_waitcnt vmcnt(1) lgkmcnt(1)
	v_mul_f64 v[16:17], v[20:21], v[2:3]
	s_delay_alu instid0(VALU_DEP_1) | instskip(SKIP_1) | instid1(VALU_DEP_1)
	v_fma_f64 v[16:17], v[18:19], v[0:1], v[16:17]
	v_mul_f64 v[0:1], v[20:21], v[0:1]
	v_fma_f64 v[18:19], v[18:19], v[2:3], -v[0:1]
	s_waitcnt vmcnt(0) lgkmcnt(0)
	v_mul_f64 v[0:1], v[24:25], v[6:7]
	s_delay_alu instid0(VALU_DEP_1) | instskip(SKIP_1) | instid1(VALU_DEP_1)
	v_fma_f64 v[20:21], v[22:23], v[4:5], v[0:1]
	v_mul_f64 v[0:1], v[24:25], v[4:5]
	v_fma_f64 v[22:23], v[22:23], v[6:7], -v[0:1]
	ds_load_b128 v[0:3], v186 offset:7744
	ds_load_b128 v[4:7], v186 offset:9680
	s_clause 0x1
	scratch_load_b128 v[26:29], off, off offset:56
	scratch_load_b128 v[30:33], off, off offset:104
	s_waitcnt vmcnt(1) lgkmcnt(1)
	v_mul_f64 v[24:25], v[28:29], v[2:3]
	s_delay_alu instid0(VALU_DEP_1) | instskip(SKIP_1) | instid1(VALU_DEP_1)
	v_fma_f64 v[24:25], v[26:27], v[0:1], v[24:25]
	v_mul_f64 v[0:1], v[28:29], v[0:1]
	v_fma_f64 v[26:27], v[26:27], v[2:3], -v[0:1]
	;; [unrolled: 17-line block ×3, first 2 shown]
	s_waitcnt vmcnt(0) lgkmcnt(0)
	v_mul_f64 v[0:1], v[40:41], v[6:7]
	s_delay_alu instid0(VALU_DEP_1) | instskip(SKIP_1) | instid1(VALU_DEP_1)
	v_fma_f64 v[36:37], v[38:39], v[4:5], v[0:1]
	v_mul_f64 v[0:1], v[40:41], v[4:5]
	v_fma_f64 v[38:39], v[38:39], v[6:7], -v[0:1]
	ds_load_b128 v[0:3], v186 offset:15488
	ds_load_b128 v[4:7], v186 offset:17424
	s_clause 0x2
	scratch_load_b128 v[42:45], off, off offset:120
	scratch_load_b128 v[46:49], off, off offset:152
	;; [unrolled: 1-line block ×3, first 2 shown]
	s_waitcnt vmcnt(2) lgkmcnt(1)
	v_mul_f64 v[40:41], v[44:45], v[2:3]
	s_delay_alu instid0(VALU_DEP_1) | instskip(SKIP_1) | instid1(VALU_DEP_1)
	v_fma_f64 v[40:41], v[42:43], v[0:1], v[40:41]
	v_mul_f64 v[0:1], v[44:45], v[0:1]
	v_fma_f64 v[42:43], v[42:43], v[2:3], -v[0:1]
	s_waitcnt vmcnt(1) lgkmcnt(0)
	v_mul_f64 v[0:1], v[48:49], v[6:7]
	s_delay_alu instid0(VALU_DEP_1) | instskip(SKIP_1) | instid1(VALU_DEP_1)
	v_fma_f64 v[44:45], v[46:47], v[4:5], v[0:1]
	v_mul_f64 v[0:1], v[48:49], v[4:5]
	v_fma_f64 v[46:47], v[46:47], v[6:7], -v[0:1]
	ds_load_b128 v[0:3], v186 offset:19360
	s_waitcnt vmcnt(0) lgkmcnt(0)
	v_mul_f64 v[4:5], v[52:53], v[2:3]
	s_delay_alu instid0(VALU_DEP_1) | instskip(SKIP_2) | instid1(VALU_DEP_1)
	v_fma_f64 v[48:49], v[50:51], v[0:1], v[4:5]
	scratch_load_b64 v[4:5], off, off       ; 8-byte Folded Reload
	v_mul_f64 v[0:1], v[52:53], v[0:1]
	v_fma_f64 v[50:51], v[50:51], v[2:3], -v[0:1]
	s_waitcnt vmcnt(0)
	v_mad_u64_u32 v[0:1], null, s6, v4, 0
	s_delay_alu instid0(VALU_DEP_1) | instskip(NEXT) | instid1(VALU_DEP_1)
	v_mad_u64_u32 v[2:3], null, s7, v4, v[1:2]
	v_mov_b32_e32 v1, v2
	v_mad_u64_u32 v[2:3], null, s4, v185, 0
	s_mulk_i32 s4, 0x790
	s_delay_alu instid0(VALU_DEP_2) | instskip(NEXT) | instid1(VALU_DEP_2)
	v_lshlrev_b64 v[0:1], 4, v[0:1]
	v_mad_u64_u32 v[4:5], null, s5, v185, v[3:4]
	s_delay_alu instid0(VALU_DEP_1) | instskip(NEXT) | instid1(VALU_DEP_3)
	v_mov_b32_e32 v3, v4
	v_add_co_u32 v4, vcc_lo, s0, v0
	s_delay_alu instid0(VALU_DEP_4) | instskip(NEXT) | instid1(VALU_DEP_3)
	v_add_co_ci_u32_e32 v5, vcc_lo, s1, v1, vcc_lo
	v_lshlrev_b64 v[0:1], 4, v[2:3]
	s_mov_b32 s0, 0x3fdb1246
	s_mov_b32 s1, 0x3f489e7c
	s_delay_alu instid0(SALU_CYCLE_1) | instskip(SKIP_1) | instid1(VALU_DEP_3)
	v_mul_f64 v[2:3], v[10:11], s[0:1]
	v_mul_f64 v[6:7], v[18:19], s[0:1]
	v_add_co_u32 v52, vcc_lo, v4, v0
	v_add_co_ci_u32_e32 v53, vcc_lo, v5, v1, vcc_lo
	v_mul_f64 v[0:1], v[8:9], s[0:1]
	v_mul_f64 v[4:5], v[16:17], s[0:1]
	s_delay_alu instid0(VALU_DEP_4) | instskip(NEXT) | instid1(VALU_DEP_4)
	v_add_co_u32 v8, vcc_lo, v52, s4
	v_add_co_ci_u32_e32 v9, vcc_lo, s3, v53, vcc_lo
	v_mul_f64 v[10:11], v[26:27], s[0:1]
	v_mul_f64 v[16:17], v[32:33], s[0:1]
	;; [unrolled: 1-line block ×6, first 2 shown]
	global_store_b128 v[52:53], v[0:3], off
	v_mul_f64 v[0:1], v[12:13], s[0:1]
	v_mul_f64 v[2:3], v[14:15], s[0:1]
	v_add_co_u32 v52, vcc_lo, v8, s4
	v_add_co_ci_u32_e32 v53, vcc_lo, s3, v9, vcc_lo
	v_mul_f64 v[12:13], v[28:29], s[0:1]
	s_delay_alu instid0(VALU_DEP_3) | instskip(SKIP_1) | instid1(VALU_DEP_4)
	v_add_co_u32 v54, vcc_lo, v52, s4
	v_mul_f64 v[14:15], v[30:31], s[0:1]
	v_add_co_ci_u32_e32 v55, vcc_lo, s3, v53, vcc_lo
	v_mul_f64 v[28:29], v[44:45], s[0:1]
	v_mul_f64 v[30:31], v[46:47], s[0:1]
	global_store_b128 v[8:9], v[0:3], off
	v_mul_f64 v[0:1], v[20:21], s[0:1]
	v_mul_f64 v[2:3], v[22:23], s[0:1]
	;; [unrolled: 1-line block ×6, first 2 shown]
	v_add_co_u32 v36, vcc_lo, v54, s4
	v_add_co_ci_u32_e32 v37, vcc_lo, s3, v55, vcc_lo
	global_store_b128 v[52:53], v[4:7], off
	v_add_co_u32 v38, vcc_lo, v36, s4
	v_add_co_ci_u32_e32 v39, vcc_lo, s3, v37, vcc_lo
	s_delay_alu instid0(VALU_DEP_2) | instskip(NEXT) | instid1(VALU_DEP_2)
	v_add_co_u32 v4, vcc_lo, v38, s4
	v_add_co_ci_u32_e32 v5, vcc_lo, s3, v39, vcc_lo
	s_delay_alu instid0(VALU_DEP_2) | instskip(NEXT) | instid1(VALU_DEP_2)
	;; [unrolled: 3-line block ×3, first 2 shown]
	v_add_co_u32 v40, vcc_lo, v6, s4
	v_add_co_ci_u32_e32 v41, vcc_lo, s3, v7, vcc_lo
	global_store_b128 v[54:55], v[0:3], off
	v_add_co_u32 v0, vcc_lo, v40, s4
	v_add_co_ci_u32_e32 v1, vcc_lo, s3, v41, vcc_lo
	s_delay_alu instid0(VALU_DEP_2) | instskip(NEXT) | instid1(VALU_DEP_2)
	v_add_co_u32 v2, vcc_lo, v0, s4
	v_add_co_ci_u32_e32 v3, vcc_lo, s3, v1, vcc_lo
	global_store_b128 v[36:37], v[8:11], off
	global_store_b128 v[38:39], v[12:15], off
	global_store_b128 v[4:5], v[16:19], off
	global_store_b128 v[6:7], v[20:23], off
	global_store_b128 v[40:41], v[24:27], off
	global_store_b128 v[0:1], v[28:31], off
	global_store_b128 v[2:3], v[32:35], off
.LBB0_2:
	s_nop 0
	s_sendmsg sendmsg(MSG_DEALLOC_VGPRS)
	s_endpgm
	.section	.rodata,"a",@progbits
	.p2align	6, 0x0
	.amdhsa_kernel bluestein_single_back_len1331_dim1_dp_op_CI_CI
		.amdhsa_group_segment_fixed_size 42592
		.amdhsa_private_segment_fixed_size 228
		.amdhsa_kernarg_size 104
		.amdhsa_user_sgpr_count 15
		.amdhsa_user_sgpr_dispatch_ptr 0
		.amdhsa_user_sgpr_queue_ptr 0
		.amdhsa_user_sgpr_kernarg_segment_ptr 1
		.amdhsa_user_sgpr_dispatch_id 0
		.amdhsa_user_sgpr_private_segment_size 0
		.amdhsa_wavefront_size32 1
		.amdhsa_uses_dynamic_stack 0
		.amdhsa_enable_private_segment 1
		.amdhsa_system_sgpr_workgroup_id_x 1
		.amdhsa_system_sgpr_workgroup_id_y 0
		.amdhsa_system_sgpr_workgroup_id_z 0
		.amdhsa_system_sgpr_workgroup_info 0
		.amdhsa_system_vgpr_workitem_id 0
		.amdhsa_next_free_vgpr 256
		.amdhsa_next_free_sgpr 38
		.amdhsa_reserve_vcc 1
		.amdhsa_float_round_mode_32 0
		.amdhsa_float_round_mode_16_64 0
		.amdhsa_float_denorm_mode_32 3
		.amdhsa_float_denorm_mode_16_64 3
		.amdhsa_dx10_clamp 1
		.amdhsa_ieee_mode 1
		.amdhsa_fp16_overflow 0
		.amdhsa_workgroup_processor_mode 1
		.amdhsa_memory_ordered 1
		.amdhsa_forward_progress 0
		.amdhsa_shared_vgpr_count 0
		.amdhsa_exception_fp_ieee_invalid_op 0
		.amdhsa_exception_fp_denorm_src 0
		.amdhsa_exception_fp_ieee_div_zero 0
		.amdhsa_exception_fp_ieee_overflow 0
		.amdhsa_exception_fp_ieee_underflow 0
		.amdhsa_exception_fp_ieee_inexact 0
		.amdhsa_exception_int_div_zero 0
	.end_amdhsa_kernel
	.text
.Lfunc_end0:
	.size	bluestein_single_back_len1331_dim1_dp_op_CI_CI, .Lfunc_end0-bluestein_single_back_len1331_dim1_dp_op_CI_CI
                                        ; -- End function
	.section	.AMDGPU.csdata,"",@progbits
; Kernel info:
; codeLenInByte = 22048
; NumSgprs: 40
; NumVgprs: 256
; ScratchSize: 228
; MemoryBound: 0
; FloatMode: 240
; IeeeMode: 1
; LDSByteSize: 42592 bytes/workgroup (compile time only)
; SGPRBlocks: 4
; VGPRBlocks: 31
; NumSGPRsForWavesPerEU: 40
; NumVGPRsForWavesPerEU: 256
; Occupancy: 5
; WaveLimiterHint : 1
; COMPUTE_PGM_RSRC2:SCRATCH_EN: 1
; COMPUTE_PGM_RSRC2:USER_SGPR: 15
; COMPUTE_PGM_RSRC2:TRAP_HANDLER: 0
; COMPUTE_PGM_RSRC2:TGID_X_EN: 1
; COMPUTE_PGM_RSRC2:TGID_Y_EN: 0
; COMPUTE_PGM_RSRC2:TGID_Z_EN: 0
; COMPUTE_PGM_RSRC2:TIDIG_COMP_CNT: 0
	.text
	.p2alignl 7, 3214868480
	.fill 96, 4, 3214868480
	.type	__hip_cuid_14b1c91fb9a2af32,@object ; @__hip_cuid_14b1c91fb9a2af32
	.section	.bss,"aw",@nobits
	.globl	__hip_cuid_14b1c91fb9a2af32
__hip_cuid_14b1c91fb9a2af32:
	.byte	0                               ; 0x0
	.size	__hip_cuid_14b1c91fb9a2af32, 1

	.ident	"AMD clang version 19.0.0git (https://github.com/RadeonOpenCompute/llvm-project roc-6.4.0 25133 c7fe45cf4b819c5991fe208aaa96edf142730f1d)"
	.section	".note.GNU-stack","",@progbits
	.addrsig
	.addrsig_sym __hip_cuid_14b1c91fb9a2af32
	.amdgpu_metadata
---
amdhsa.kernels:
  - .args:
      - .actual_access:  read_only
        .address_space:  global
        .offset:         0
        .size:           8
        .value_kind:     global_buffer
      - .actual_access:  read_only
        .address_space:  global
        .offset:         8
        .size:           8
        .value_kind:     global_buffer
      - .actual_access:  read_only
        .address_space:  global
        .offset:         16
        .size:           8
        .value_kind:     global_buffer
      - .actual_access:  read_only
        .address_space:  global
        .offset:         24
        .size:           8
        .value_kind:     global_buffer
      - .actual_access:  read_only
        .address_space:  global
        .offset:         32
        .size:           8
        .value_kind:     global_buffer
      - .offset:         40
        .size:           8
        .value_kind:     by_value
      - .address_space:  global
        .offset:         48
        .size:           8
        .value_kind:     global_buffer
      - .address_space:  global
        .offset:         56
        .size:           8
        .value_kind:     global_buffer
      - .address_space:  global
        .offset:         64
        .size:           8
        .value_kind:     global_buffer
      - .address_space:  global
        .offset:         72
        .size:           8
        .value_kind:     global_buffer
      - .offset:         80
        .size:           4
        .value_kind:     by_value
      - .address_space:  global
        .offset:         88
        .size:           8
        .value_kind:     global_buffer
      - .address_space:  global
        .offset:         96
        .size:           8
        .value_kind:     global_buffer
    .group_segment_fixed_size: 42592
    .kernarg_segment_align: 8
    .kernarg_segment_size: 104
    .language:       OpenCL C
    .language_version:
      - 2
      - 0
    .max_flat_workgroup_size: 242
    .name:           bluestein_single_back_len1331_dim1_dp_op_CI_CI
    .private_segment_fixed_size: 228
    .sgpr_count:     40
    .sgpr_spill_count: 0
    .symbol:         bluestein_single_back_len1331_dim1_dp_op_CI_CI.kd
    .uniform_work_group_size: 1
    .uses_dynamic_stack: false
    .vgpr_count:     256
    .vgpr_spill_count: 56
    .wavefront_size: 32
    .workgroup_processor_mode: 1
amdhsa.target:   amdgcn-amd-amdhsa--gfx1100
amdhsa.version:
  - 1
  - 2
...

	.end_amdgpu_metadata
